;; amdgpu-corpus repo=ROCm/rocFFT kind=compiled arch=gfx906 opt=O3
	.text
	.amdgcn_target "amdgcn-amd-amdhsa--gfx906"
	.amdhsa_code_object_version 6
	.protected	fft_rtc_back_len1248_factors_2_2_13_2_3_2_2_wgs_52_tpt_52_halfLds_dp_ip_CI_unitstride_sbrr_dirReg ; -- Begin function fft_rtc_back_len1248_factors_2_2_13_2_3_2_2_wgs_52_tpt_52_halfLds_dp_ip_CI_unitstride_sbrr_dirReg
	.globl	fft_rtc_back_len1248_factors_2_2_13_2_3_2_2_wgs_52_tpt_52_halfLds_dp_ip_CI_unitstride_sbrr_dirReg
	.p2align	8
	.type	fft_rtc_back_len1248_factors_2_2_13_2_3_2_2_wgs_52_tpt_52_halfLds_dp_ip_CI_unitstride_sbrr_dirReg,@function
fft_rtc_back_len1248_factors_2_2_13_2_3_2_2_wgs_52_tpt_52_halfLds_dp_ip_CI_unitstride_sbrr_dirReg: ; @fft_rtc_back_len1248_factors_2_2_13_2_3_2_2_wgs_52_tpt_52_halfLds_dp_ip_CI_unitstride_sbrr_dirReg
; %bb.0:
	s_load_dwordx2 s[12:13], s[4:5], 0x50
	s_load_dwordx4 s[8:11], s[4:5], 0x0
	s_load_dwordx2 s[2:3], s[4:5], 0x18
	v_mul_u32_u24_e32 v1, 0x4ed, v0
	v_add_u32_sdwa v5, s6, v1 dst_sel:DWORD dst_unused:UNUSED_PAD src0_sel:DWORD src1_sel:WORD_1
	v_mov_b32_e32 v3, 0
	s_waitcnt lgkmcnt(0)
	v_cmp_lt_u64_e64 s[0:1], s[10:11], 2
	v_mov_b32_e32 v1, 0
	v_mov_b32_e32 v6, v3
	s_and_b64 vcc, exec, s[0:1]
	v_mov_b32_e32 v2, 0
	s_cbranch_vccnz .LBB0_8
; %bb.1:
	s_load_dwordx2 s[0:1], s[4:5], 0x10
	s_add_u32 s6, s2, 8
	s_addc_u32 s7, s3, 0
	v_mov_b32_e32 v1, 0
	v_mov_b32_e32 v2, 0
	s_waitcnt lgkmcnt(0)
	s_add_u32 s14, s0, 8
	s_addc_u32 s15, s1, 0
	s_mov_b64 s[16:17], 1
.LBB0_2:                                ; =>This Inner Loop Header: Depth=1
	s_load_dwordx2 s[18:19], s[14:15], 0x0
                                        ; implicit-def: $vgpr7_vgpr8
	s_waitcnt lgkmcnt(0)
	v_or_b32_e32 v4, s19, v6
	v_cmp_ne_u64_e32 vcc, 0, v[3:4]
	s_and_saveexec_b64 s[0:1], vcc
	s_xor_b64 s[20:21], exec, s[0:1]
	s_cbranch_execz .LBB0_4
; %bb.3:                                ;   in Loop: Header=BB0_2 Depth=1
	v_cvt_f32_u32_e32 v4, s18
	v_cvt_f32_u32_e32 v7, s19
	s_sub_u32 s0, 0, s18
	s_subb_u32 s1, 0, s19
	v_mac_f32_e32 v4, 0x4f800000, v7
	v_rcp_f32_e32 v4, v4
	v_mul_f32_e32 v4, 0x5f7ffffc, v4
	v_mul_f32_e32 v7, 0x2f800000, v4
	v_trunc_f32_e32 v7, v7
	v_mac_f32_e32 v4, 0xcf800000, v7
	v_cvt_u32_f32_e32 v7, v7
	v_cvt_u32_f32_e32 v4, v4
	v_mul_lo_u32 v8, s0, v7
	v_mul_hi_u32 v9, s0, v4
	v_mul_lo_u32 v11, s1, v4
	v_mul_lo_u32 v10, s0, v4
	v_add_u32_e32 v8, v9, v8
	v_add_u32_e32 v8, v8, v11
	v_mul_hi_u32 v9, v4, v10
	v_mul_lo_u32 v11, v4, v8
	v_mul_hi_u32 v13, v4, v8
	v_mul_hi_u32 v12, v7, v10
	v_mul_lo_u32 v10, v7, v10
	v_mul_hi_u32 v14, v7, v8
	v_add_co_u32_e32 v9, vcc, v9, v11
	v_addc_co_u32_e32 v11, vcc, 0, v13, vcc
	v_mul_lo_u32 v8, v7, v8
	v_add_co_u32_e32 v9, vcc, v9, v10
	v_addc_co_u32_e32 v9, vcc, v11, v12, vcc
	v_addc_co_u32_e32 v10, vcc, 0, v14, vcc
	v_add_co_u32_e32 v8, vcc, v9, v8
	v_addc_co_u32_e32 v9, vcc, 0, v10, vcc
	v_add_co_u32_e32 v4, vcc, v4, v8
	v_addc_co_u32_e32 v7, vcc, v7, v9, vcc
	v_mul_lo_u32 v8, s0, v7
	v_mul_hi_u32 v9, s0, v4
	v_mul_lo_u32 v10, s1, v4
	v_mul_lo_u32 v11, s0, v4
	v_add_u32_e32 v8, v9, v8
	v_add_u32_e32 v8, v8, v10
	v_mul_lo_u32 v12, v4, v8
	v_mul_hi_u32 v13, v4, v11
	v_mul_hi_u32 v14, v4, v8
	;; [unrolled: 1-line block ×3, first 2 shown]
	v_mul_lo_u32 v11, v7, v11
	v_mul_hi_u32 v9, v7, v8
	v_add_co_u32_e32 v12, vcc, v13, v12
	v_addc_co_u32_e32 v13, vcc, 0, v14, vcc
	v_mul_lo_u32 v8, v7, v8
	v_add_co_u32_e32 v11, vcc, v12, v11
	v_addc_co_u32_e32 v10, vcc, v13, v10, vcc
	v_addc_co_u32_e32 v9, vcc, 0, v9, vcc
	v_add_co_u32_e32 v8, vcc, v10, v8
	v_addc_co_u32_e32 v9, vcc, 0, v9, vcc
	v_add_co_u32_e32 v4, vcc, v4, v8
	v_addc_co_u32_e32 v9, vcc, v7, v9, vcc
	v_mad_u64_u32 v[7:8], s[0:1], v5, v9, 0
	v_mul_hi_u32 v10, v5, v4
	v_add_co_u32_e32 v11, vcc, v10, v7
	v_addc_co_u32_e32 v12, vcc, 0, v8, vcc
	v_mad_u64_u32 v[7:8], s[0:1], v6, v4, 0
	v_mad_u64_u32 v[9:10], s[0:1], v6, v9, 0
	v_add_co_u32_e32 v4, vcc, v11, v7
	v_addc_co_u32_e32 v4, vcc, v12, v8, vcc
	v_addc_co_u32_e32 v7, vcc, 0, v10, vcc
	v_add_co_u32_e32 v4, vcc, v4, v9
	v_addc_co_u32_e32 v9, vcc, 0, v7, vcc
	v_mul_lo_u32 v10, s19, v4
	v_mul_lo_u32 v11, s18, v9
	v_mad_u64_u32 v[7:8], s[0:1], s18, v4, 0
	v_add3_u32 v8, v8, v11, v10
	v_sub_u32_e32 v10, v6, v8
	v_mov_b32_e32 v11, s19
	v_sub_co_u32_e32 v7, vcc, v5, v7
	v_subb_co_u32_e64 v10, s[0:1], v10, v11, vcc
	v_subrev_co_u32_e64 v11, s[0:1], s18, v7
	v_subbrev_co_u32_e64 v10, s[0:1], 0, v10, s[0:1]
	v_cmp_le_u32_e64 s[0:1], s19, v10
	v_cndmask_b32_e64 v12, 0, -1, s[0:1]
	v_cmp_le_u32_e64 s[0:1], s18, v11
	v_cndmask_b32_e64 v11, 0, -1, s[0:1]
	v_cmp_eq_u32_e64 s[0:1], s19, v10
	v_cndmask_b32_e64 v10, v12, v11, s[0:1]
	v_add_co_u32_e64 v11, s[0:1], 2, v4
	v_addc_co_u32_e64 v12, s[0:1], 0, v9, s[0:1]
	v_add_co_u32_e64 v13, s[0:1], 1, v4
	v_addc_co_u32_e64 v14, s[0:1], 0, v9, s[0:1]
	v_subb_co_u32_e32 v8, vcc, v6, v8, vcc
	v_cmp_ne_u32_e64 s[0:1], 0, v10
	v_cmp_le_u32_e32 vcc, s19, v8
	v_cndmask_b32_e64 v10, v14, v12, s[0:1]
	v_cndmask_b32_e64 v12, 0, -1, vcc
	v_cmp_le_u32_e32 vcc, s18, v7
	v_cndmask_b32_e64 v7, 0, -1, vcc
	v_cmp_eq_u32_e32 vcc, s19, v8
	v_cndmask_b32_e32 v7, v12, v7, vcc
	v_cmp_ne_u32_e32 vcc, 0, v7
	v_cndmask_b32_e64 v7, v13, v11, s[0:1]
	v_cndmask_b32_e32 v8, v9, v10, vcc
	v_cndmask_b32_e32 v7, v4, v7, vcc
.LBB0_4:                                ;   in Loop: Header=BB0_2 Depth=1
	s_andn2_saveexec_b64 s[0:1], s[20:21]
	s_cbranch_execz .LBB0_6
; %bb.5:                                ;   in Loop: Header=BB0_2 Depth=1
	v_cvt_f32_u32_e32 v4, s18
	s_sub_i32 s20, 0, s18
	v_rcp_iflag_f32_e32 v4, v4
	v_mul_f32_e32 v4, 0x4f7ffffe, v4
	v_cvt_u32_f32_e32 v4, v4
	v_mul_lo_u32 v7, s20, v4
	v_mul_hi_u32 v7, v4, v7
	v_add_u32_e32 v4, v4, v7
	v_mul_hi_u32 v4, v5, v4
	v_mul_lo_u32 v7, v4, s18
	v_add_u32_e32 v8, 1, v4
	v_sub_u32_e32 v7, v5, v7
	v_subrev_u32_e32 v9, s18, v7
	v_cmp_le_u32_e32 vcc, s18, v7
	v_cndmask_b32_e32 v7, v7, v9, vcc
	v_cndmask_b32_e32 v4, v4, v8, vcc
	v_add_u32_e32 v8, 1, v4
	v_cmp_le_u32_e32 vcc, s18, v7
	v_cndmask_b32_e32 v7, v4, v8, vcc
	v_mov_b32_e32 v8, v3
.LBB0_6:                                ;   in Loop: Header=BB0_2 Depth=1
	s_or_b64 exec, exec, s[0:1]
	v_mul_lo_u32 v4, v8, s18
	v_mul_lo_u32 v11, v7, s19
	v_mad_u64_u32 v[9:10], s[0:1], v7, s18, 0
	s_load_dwordx2 s[0:1], s[6:7], 0x0
	s_add_u32 s16, s16, 1
	v_add3_u32 v4, v10, v11, v4
	v_sub_co_u32_e32 v5, vcc, v5, v9
	v_subb_co_u32_e32 v4, vcc, v6, v4, vcc
	s_waitcnt lgkmcnt(0)
	v_mul_lo_u32 v4, s0, v4
	v_mul_lo_u32 v6, s1, v5
	v_mad_u64_u32 v[1:2], s[0:1], s0, v5, v[1:2]
	s_addc_u32 s17, s17, 0
	s_add_u32 s6, s6, 8
	v_add3_u32 v2, v6, v2, v4
	v_mov_b32_e32 v4, s10
	v_mov_b32_e32 v5, s11
	s_addc_u32 s7, s7, 0
	v_cmp_ge_u64_e32 vcc, s[16:17], v[4:5]
	s_add_u32 s14, s14, 8
	s_addc_u32 s15, s15, 0
	s_cbranch_vccnz .LBB0_9
; %bb.7:                                ;   in Loop: Header=BB0_2 Depth=1
	v_mov_b32_e32 v5, v7
	v_mov_b32_e32 v6, v8
	s_branch .LBB0_2
.LBB0_8:
	v_mov_b32_e32 v8, v6
	v_mov_b32_e32 v7, v5
.LBB0_9:
	s_lshl_b64 s[0:1], s[10:11], 3
	s_add_u32 s0, s2, s0
	s_addc_u32 s1, s3, s1
	s_load_dwordx2 s[2:3], s[0:1], 0x0
	s_load_dwordx2 s[6:7], s[4:5], 0x20
                                        ; implicit-def: $vgpr74_vgpr75
                                        ; implicit-def: $vgpr62_vgpr63
                                        ; implicit-def: $vgpr66_vgpr67
                                        ; implicit-def: $vgpr54_vgpr55
                                        ; implicit-def: $vgpr70_vgpr71
                                        ; implicit-def: $vgpr42_vgpr43
                                        ; implicit-def: $vgpr82_vgpr83
                                        ; implicit-def: $vgpr38_vgpr39
                                        ; implicit-def: $vgpr46_vgpr47
                                        ; implicit-def: $vgpr34_vgpr35
                                        ; implicit-def: $vgpr50_vgpr51
                                        ; implicit-def: $vgpr22_vgpr23
                                        ; implicit-def: $vgpr26_vgpr27
                                        ; implicit-def: $vgpr14_vgpr15
                                        ; implicit-def: $vgpr18_vgpr19
                                        ; implicit-def: $vgpr58_vgpr59
                                        ; implicit-def: $vgpr30_vgpr31
                                        ; implicit-def: $vgpr10_vgpr11
                                        ; implicit-def: $vgpr86_vgpr87
                                        ; implicit-def: $vgpr90_vgpr91
                                        ; implicit-def: $vgpr94_vgpr95
                                        ; implicit-def: $vgpr78_vgpr79
	s_waitcnt lgkmcnt(0)
	v_mad_u64_u32 v[1:2], s[0:1], s2, v7, v[1:2]
	v_mul_lo_u32 v3, s2, v8
	v_mul_lo_u32 v4, s3, v7
	s_mov_b32 s0, 0x4ec4ec5
	v_mul_hi_u32 v5, v0, s0
	v_cmp_gt_u64_e32 vcc, s[6:7], v[7:8]
	v_add3_u32 v2, v4, v2, v3
	v_lshlrev_b64 v[126:127], 4, v[1:2]
	v_mul_u32_u24_e32 v3, 52, v5
	v_sub_u32_e32 v124, v0, v3
                                        ; implicit-def: $vgpr6_vgpr7
                                        ; implicit-def: $vgpr2_vgpr3
	s_and_saveexec_b64 s[2:3], vcc
	s_cbranch_execz .LBB0_11
; %bb.10:
	v_mov_b32_e32 v125, 0
	v_mov_b32_e32 v0, s13
	v_add_co_u32_e64 v14, s[0:1], s12, v126
	v_addc_co_u32_e64 v15, s[0:1], v0, v127, s[0:1]
	v_lshlrev_b64 v[0:1], 4, v[124:125]
	v_or_b32_e32 v12, 0x340, v124
	v_add_co_u32_e64 v96, s[0:1], v14, v0
	v_addc_co_u32_e64 v97, s[0:1], v15, v1, s[0:1]
	s_movk_i32 s0, 0x2000
	v_add_co_u32_e64 v98, s[0:1], s0, v96
	v_addc_co_u32_e64 v99, s[0:1], 0, v97, s[0:1]
	s_movk_i32 s0, 0x3000
	v_mov_b32_e32 v13, v125
	v_add_co_u32_e64 v100, s[0:1], s0, v96
	v_lshlrev_b64 v[12:13], 4, v[12:13]
	v_addc_co_u32_e64 v101, s[0:1], 0, v97, s[0:1]
	v_add_co_u32_e64 v36, s[0:1], v14, v12
	v_addc_co_u32_e64 v37, s[0:1], v15, v13, s[0:1]
	s_movk_i32 s0, 0x1000
	v_add_co_u32_e64 v102, s[0:1], s0, v96
	v_addc_co_u32_e64 v103, s[0:1], 0, v97, s[0:1]
	s_movk_i32 s0, 0x4000
	v_add_co_u32_e64 v104, s[0:1], s0, v96
	global_load_dwordx4 v[76:79], v[96:97], off
	global_load_dwordx4 v[0:3], v[96:97], off offset:832
	global_load_dwordx4 v[4:7], v[96:97], off offset:1664
	;; [unrolled: 1-line block ×3, first 2 shown]
	global_load_dwordx4 v[16:19], v[36:37], off
	global_load_dwordx4 v[12:15], v[102:103], off offset:64
	global_load_dwordx4 v[28:31], v[100:101], off offset:192
	;; [unrolled: 1-line block ×5, first 2 shown]
	v_addc_co_u32_e64 v105, s[0:1], 0, v97, s[0:1]
	global_load_dwordx4 v[48:51], v[100:101], off offset:2688
	global_load_dwordx4 v[44:47], v[100:101], off offset:3520
	;; [unrolled: 1-line block ×14, first 2 shown]
.LBB0_11:
	s_or_b64 exec, exec, s[2:3]
	s_waitcnt vmcnt(5)
	v_add_f64 v[96:97], v[76:77], -v[92:93]
	v_add_f64 v[108:109], v[4:5], -v[84:85]
	;; [unrolled: 1-line block ×4, first 2 shown]
	v_add_u32_e32 v148, 0x68, v124
	v_add_f64 v[116:117], v[56:57], -v[16:17]
	v_lshl_add_u32 v16, v124, 4, 0
	v_add_u32_e32 v149, 52, v124
	v_fma_f64 v[94:95], v[76:77], 2.0, -v[96:97]
	v_fma_f64 v[106:107], v[4:5], 2.0, -v[108:109]
	;; [unrolled: 1-line block ×3, first 2 shown]
	v_lshl_add_u32 v5, v148, 4, 0
	v_lshl_add_u32 v4, v149, 4, 0
	v_fma_f64 v[102:103], v[78:79], 2.0, -v[104:105]
	v_add_f64 v[78:79], v[20:21], -v[48:49]
	v_add_f64 v[112:113], v[8:9], -v[28:29]
	ds_write_b128 v16, v[94:97]
	ds_write_b128 v4, v[98:101]
	;; [unrolled: 1-line block ×3, first 2 shown]
	s_waitcnt vmcnt(0)
	v_add_f64 v[108:109], v[60:61], -v[72:73]
	v_add_f64 v[94:95], v[32:33], -v[44:45]
	v_add_u32_e32 v138, 0x23c, v124
	v_add_f64 v[120:121], v[12:13], -v[24:25]
	v_fma_f64 v[76:77], v[20:21], 2.0, -v[78:79]
	v_add_f64 v[80:81], v[36:37], -v[80:81]
	v_add_f64 v[96:97], v[40:41], -v[68:69]
	;; [unrolled: 1-line block ×3, first 2 shown]
	v_fma_f64 v[106:107], v[60:61], 2.0, -v[108:109]
	v_fma_f64 v[92:93], v[32:33], 2.0, -v[94:95]
	v_lshl_add_u32 v60, v138, 4, 0
	v_fma_f64 v[110:111], v[8:9], 2.0, -v[112:113]
	v_add_f64 v[8:9], v[6:7], -v[86:87]
	v_add_u32_e32 v142, 0x138, v124
	v_add_u32_e32 v143, 0x16c, v124
	v_fma_f64 v[114:115], v[56:57], 2.0, -v[116:117]
	ds_write_b128 v60, v[106:109]
	v_add_f64 v[108:109], v[2:3], -v[90:91]
	v_lshl_add_u32 v45, v142, 4, 0
	v_lshl_add_u32 v56, v143, 4, 0
	v_fma_f64 v[118:119], v[12:13], 2.0, -v[120:121]
	ds_write_b128 v45, v[76:79]
	v_fma_f64 v[78:79], v[36:37], 2.0, -v[80:81]
	ds_write_b128 v56, v[92:95]
	v_fma_f64 v[94:95], v[40:41], 2.0, -v[96:97]
	v_fma_f64 v[98:99], v[52:53], 2.0, -v[100:101]
	;; [unrolled: 1-line block ×4, first 2 shown]
	v_add_u32_e32 v147, 0x9c, v124
	v_add_u32_e32 v145, 0xd0, v124
	;; [unrolled: 1-line block ×6, first 2 shown]
	v_lshl_add_u32 v141, v124, 3, 0
	v_lshl_add_u32 v48, v147, 4, 0
	;; [unrolled: 1-line block ×7, first 2 shown]
	v_add_u32_e32 v125, 0x1000, v141
	v_add_u32_e32 v131, 0x400, v141
	v_add_f64 v[12:13], v[10:11], -v[30:31]
	ds_write_b128 v48, v[110:113]
	ds_write_b128 v49, v[114:117]
	;; [unrolled: 1-line block ×6, first 2 shown]
	s_waitcnt lgkmcnt(0)
	; wave barrier
	s_waitcnt lgkmcnt(0)
	v_add_u32_e32 v72, 0x1400, v141
	v_add_u32_e32 v130, 0x1800, v141
	;; [unrolled: 1-line block ×4, first 2 shown]
	ds_read2_b64 v[132:135], v141 offset1:52
	ds_read2_b64 v[92:95], v125 offset0:112 offset1:164
	ds_read2_b64 v[151:154], v141 offset0:104 offset1:156
	ds_read2_b64 v[76:79], v72 offset0:88 offset1:140
	ds_read2_b64 v[155:158], v131 offset0:80 offset1:132
	ds_read2_b64 v[96:99], v130 offset0:64 offset1:116
	ds_read2_b64 v[159:162], v136 offset0:56 offset1:108
	ds_read2_b64 v[88:91], v130 offset0:168 offset1:220
	ds_read2_b64 v[163:166], v136 offset0:160 offset1:212
	ds_read2_b64 v[84:87], v112 offset0:16 offset1:68
	ds_read2_b64 v[167:170], v125 offset0:8 offset1:60
	ds_read2_b64 v[0:3], v112 offset0:120 offset1:172
	s_waitcnt lgkmcnt(0)
	; wave barrier
	s_waitcnt lgkmcnt(0)
	ds_write_b128 v16, v[102:105]
	ds_write_b128 v4, v[106:109]
	;; [unrolled: 1-line block ×3, first 2 shown]
	v_add_f64 v[6:7], v[58:59], -v[18:19]
	v_add_f64 v[16:17], v[14:15], -v[26:27]
	;; [unrolled: 1-line block ×7, first 2 shown]
	v_fma_f64 v[10:11], v[10:11], 2.0, -v[12:13]
	v_add_f64 v[40:41], v[62:63], -v[74:75]
	v_fma_f64 v[4:5], v[58:59], 2.0, -v[6:7]
	v_fma_f64 v[14:15], v[14:15], 2.0, -v[16:17]
	;; [unrolled: 1-line block ×8, first 2 shown]
	ds_write_b128 v48, v[10:13]
	ds_write_b128 v49, v[4:7]
	ds_write_b128 v44, v[14:17]
	ds_write_b128 v45, v[18:21]
	ds_write_b128 v56, v[22:25]
	ds_write_b128 v57, v[26:29]
	ds_write_b128 v52, v[30:33]
	ds_write_b128 v53, v[34:37]
	ds_write_b128 v60, v[38:41]
	v_and_b32_e32 v36, 1, v124
	v_lshlrev_b32_e32 v4, 4, v36
	s_waitcnt lgkmcnt(0)
	; wave barrier
	s_waitcnt lgkmcnt(0)
	global_load_dwordx4 v[56:59], v4, s[8:9]
	ds_read2_b64 v[68:71], v125 offset0:112 offset1:164
	ds_read2_b64 v[64:67], v141 offset1:52
	ds_read2_b64 v[60:63], v141 offset0:104 offset1:156
	ds_read2_b64 v[72:75], v72 offset0:88 offset1:140
	;; [unrolled: 1-line block ×3, first 2 shown]
	s_movk_i32 s0, 0x7c
	v_lshlrev_b32_e32 v129, 1, v124
	ds_read2_b64 v[116:119], v130 offset0:64 offset1:116
	ds_read2_b64 v[80:83], v136 offset0:56 offset1:108
	ds_read2_b64 v[120:123], v130 offset0:168 offset1:220
	ds_read2_b64 v[100:103], v136 offset0:160 offset1:212
	ds_read2_b64 v[108:111], v112 offset0:16 offset1:68
	v_and_or_b32 v18, v129, s0, v36
	v_lshl_add_u32 v137, v18, 3, 0
	ds_read2_b64 v[112:115], v112 offset0:120 offset1:172
	ds_read2_b64 v[104:107], v125 offset0:8 offset1:60
	s_waitcnt lgkmcnt(0)
	; wave barrier
	s_waitcnt lgkmcnt(0)
	s_movk_i32 s0, 0xfc
	v_lshlrev_b32_e32 v128, 1, v149
	v_and_or_b32 v20, v128, s0, v36
	v_lshl_add_u32 v150, v20, 3, 0
	s_movk_i32 s0, 0x1fc
	s_movk_i32 s1, 0x2fc
	s_waitcnt vmcnt(0)
	v_mul_f64 v[4:5], v[68:69], v[58:59]
	v_mul_f64 v[6:7], v[70:71], v[58:59]
	;; [unrolled: 1-line block ×5, first 2 shown]
	v_fma_f64 v[4:5], v[92:93], v[56:57], v[4:5]
	v_fma_f64 v[6:7], v[94:95], v[56:57], v[6:7]
	;; [unrolled: 1-line block ×3, first 2 shown]
	v_add_f64 v[4:5], v[132:133], -v[4:5]
	v_add_f64 v[6:7], v[134:135], -v[6:7]
	;; [unrolled: 1-line block ×3, first 2 shown]
	v_fma_f64 v[14:15], v[132:133], 2.0, -v[4:5]
	ds_write2_b64 v137, v[14:15], v[4:5] offset1:2
	v_fma_f64 v[4:5], v[78:79], v[56:57], v[16:17]
	v_fma_f64 v[14:15], v[134:135], 2.0, -v[6:7]
	v_fma_f64 v[16:17], v[96:97], v[56:57], v[18:19]
	v_lshlrev_b32_e32 v18, 1, v148
	v_and_or_b32 v20, v18, s0, v36
                                        ; implicit-def: $vgpr134_vgpr135
	v_add_f64 v[4:5], v[153:154], -v[4:5]
	ds_write2_b64 v150, v[14:15], v[6:7] offset1:2
	v_fma_f64 v[6:7], v[151:152], 2.0, -v[12:13]
	v_add_f64 v[16:17], v[155:156], -v[16:17]
	v_lshl_add_u32 v151, v20, 3, 0
	v_mul_f64 v[14:15], v[118:119], v[58:59]
	v_fma_f64 v[18:19], v[153:154], 2.0, -v[4:5]
	ds_write2_b64 v151, v[6:7], v[12:13] offset1:2
	v_fma_f64 v[12:13], v[155:156], 2.0, -v[16:17]
	v_lshlrev_b32_e32 v6, 1, v147
	v_and_or_b32 v20, v6, s0, v36
	v_lshl_add_u32 v152, v20, 3, 0
	s_movk_i32 s0, 0x3fc
	ds_write2_b64 v152, v[18:19], v[4:5] offset1:2
	v_lshlrev_b32_e32 v4, 1, v145
	v_and_or_b32 v4, v4, s0, v36
	v_lshl_add_u32 v153, v4, 3, 0
	ds_write2_b64 v153, v[12:13], v[16:17] offset1:2
	v_mul_f64 v[4:5], v[114:115], v[58:59]
	v_mul_f64 v[12:13], v[120:121], v[58:59]
	v_fma_f64 v[6:7], v[98:99], v[56:57], v[14:15]
	v_mul_f64 v[14:15], v[112:113], v[58:59]
	v_mul_f64 v[16:17], v[110:111], v[58:59]
	;; [unrolled: 1-line block ×4, first 2 shown]
	v_fma_f64 v[4:5], v[2:3], v[56:57], v[4:5]
	v_fma_f64 v[12:13], v[88:89], v[56:57], v[12:13]
	v_add_f64 v[6:7], v[157:158], -v[6:7]
	v_fma_f64 v[14:15], v[0:1], v[56:57], v[14:15]
	v_fma_f64 v[24:25], v[86:87], v[56:57], v[16:17]
	;; [unrolled: 1-line block ×4, first 2 shown]
	v_lshlrev_b32_e32 v16, 1, v144
	v_and_or_b32 v30, v16, s1, v36
	v_add_f64 v[16:17], v[169:170], -v[4:5]
	v_add_f64 v[4:5], v[159:160], -v[12:13]
	v_fma_f64 v[22:23], v[157:158], 2.0, -v[6:7]
	v_add_f64 v[20:21], v[167:168], -v[14:15]
	v_add_f64 v[24:25], v[165:166], -v[24:25]
	v_add_f64 v[28:29], v[163:164], -v[18:19]
	v_add_f64 v[32:33], v[161:162], -v[26:27]
	v_lshl_add_u32 v154, v30, 3, 0
	v_lshlrev_b32_e32 v14, 1, v142
	v_fma_f64 v[12:13], v[159:160], 2.0, -v[4:5]
	ds_write2_b64 v154, v[22:23], v[6:7] offset1:2
	v_fma_f64 v[22:23], v[169:170], 2.0, -v[16:17]
	v_fma_f64 v[26:27], v[167:168], 2.0, -v[20:21]
	;; [unrolled: 1-line block ×5, first 2 shown]
	v_and_or_b32 v14, v14, s1, v36
	v_lshl_add_u32 v155, v14, 3, 0
	ds_write2_b64 v155, v[12:13], v[4:5] offset1:2
	v_lshlrev_b32_e32 v12, 1, v143
	v_lshlrev_b32_e32 v13, 1, v146
	v_and_or_b32 v12, v12, s0, v36
	v_and_or_b32 v13, v13, s0, v36
	s_movk_i32 s0, 0x7fc
	v_lshlrev_b32_e32 v14, 1, v140
	v_and_or_b32 v14, v14, s0, v36
	s_movk_i32 s0, 0x4fc
	v_lshlrev_b32_e32 v15, 1, v139
	v_lshlrev_b32_e32 v18, 1, v138
	v_and_or_b32 v15, v15, s0, v36
	v_and_or_b32 v18, v18, s0, v36
	v_lshl_add_u32 v156, v12, 3, 0
	v_lshl_add_u32 v157, v13, 3, 0
	;; [unrolled: 1-line block ×5, first 2 shown]
	ds_write2_b64 v156, v[6:7], v[32:33] offset1:2
	ds_write2_b64 v157, v[34:35], v[28:29] offset1:2
	;; [unrolled: 1-line block ×5, first 2 shown]
	s_waitcnt lgkmcnt(0)
	; wave barrier
	s_waitcnt lgkmcnt(0)
	v_add_u32_e32 v161, 0x1c00, v141
	ds_read_b64 v[132:133], v141 offset:9216
	ds_read2_b64 v[12:15], v141 offset1:96
	ds_read2_b64 v[52:55], v131 offset0:64 offset1:160
	ds_read2_b64 v[48:51], v136 offset0:128 offset1:224
	;; [unrolled: 1-line block ×3, first 2 shown]
	ds_read2_b64 v[40:43], v130 offset1:96
	ds_read2_b64 v[36:39], v161 offset0:64 offset1:160
	v_cmp_gt_u32_e64 s[0:1], 44, v124
	s_and_saveexec_b64 s[2:3], s[0:1]
	s_cbranch_execz .LBB0_13
; %bb.12:
	v_add_u32_e32 v16, 0xc00, v141
	ds_read2_b64 v[4:7], v141 offset0:52 offset1:148
	ds_read2_b64 v[32:35], v131 offset0:116 offset1:212
	;; [unrolled: 1-line block ×6, first 2 shown]
	ds_read_b64 v[134:135], v141 offset:9632
.LBB0_13:
	s_or_b64 exec, exec, s[2:3]
	v_mul_f64 v[92:93], v[92:93], v[58:59]
	v_mul_f64 v[94:95], v[94:95], v[58:59]
	v_mul_f64 v[76:77], v[76:77], v[58:59]
	v_mul_f64 v[78:79], v[78:79], v[58:59]
	v_mul_f64 v[96:97], v[96:97], v[58:59]
	v_mul_f64 v[98:99], v[98:99], v[58:59]
	v_mul_f64 v[88:89], v[88:89], v[58:59]
	v_mul_f64 v[90:91], v[90:91], v[58:59]
	v_fma_f64 v[68:69], v[68:69], v[56:57], -v[92:93]
	v_fma_f64 v[70:71], v[70:71], v[56:57], -v[94:95]
	v_fma_f64 v[72:73], v[72:73], v[56:57], -v[76:77]
	v_mul_f64 v[84:85], v[84:85], v[58:59]
	v_mul_f64 v[86:87], v[86:87], v[58:59]
	v_mul_f64 v[0:1], v[0:1], v[58:59]
	v_mul_f64 v[2:3], v[2:3], v[58:59]
	v_fma_f64 v[74:75], v[74:75], v[56:57], -v[78:79]
	v_fma_f64 v[76:77], v[116:117], v[56:57], -v[96:97]
	;; [unrolled: 1-line block ×5, first 2 shown]
	v_add_f64 v[92:93], v[64:65], -v[68:69]
	v_add_f64 v[94:95], v[66:67], -v[70:71]
	;; [unrolled: 1-line block ×3, first 2 shown]
	v_fma_f64 v[58:59], v[108:109], v[56:57], -v[84:85]
	v_fma_f64 v[68:69], v[110:111], v[56:57], -v[86:87]
	;; [unrolled: 1-line block ×4, first 2 shown]
	v_add_f64 v[74:75], v[62:63], -v[74:75]
	v_add_f64 v[76:77], v[8:9], -v[76:77]
	;; [unrolled: 1-line block ×5, first 2 shown]
	v_fma_f64 v[84:85], v[64:65], 2.0, -v[92:93]
	v_fma_f64 v[98:99], v[60:61], 2.0, -v[96:97]
	v_add_f64 v[60:61], v[100:101], -v[58:59]
	v_add_f64 v[64:65], v[102:103], -v[68:69]
	;; [unrolled: 1-line block ×4, first 2 shown]
	v_fma_f64 v[86:87], v[66:67], 2.0, -v[94:95]
	v_fma_f64 v[108:109], v[62:63], 2.0, -v[74:75]
	;; [unrolled: 1-line block ×10, first 2 shown]
	s_waitcnt lgkmcnt(0)
	; wave barrier
	s_waitcnt lgkmcnt(0)
	ds_write2_b64 v137, v[84:85], v[92:93] offset1:2
	ds_write2_b64 v150, v[86:87], v[94:95] offset1:2
	;; [unrolled: 1-line block ×12, first 2 shown]
	s_waitcnt lgkmcnt(0)
	; wave barrier
	s_waitcnt lgkmcnt(0)
	ds_read2_b64 v[8:11], v141 offset1:96
	ds_read2_b64 v[92:95], v131 offset0:64 offset1:160
	ds_read2_b64 v[88:91], v136 offset0:128 offset1:224
	;; [unrolled: 1-line block ×3, first 2 shown]
	ds_read2_b64 v[80:83], v130 offset1:96
	ds_read2_b64 v[76:79], v161 offset0:64 offset1:160
	ds_read_b64 v[96:97], v141 offset:9216
                                        ; implicit-def: $vgpr136_vgpr137
	s_and_saveexec_b64 s[2:3], s[0:1]
	s_cbranch_execz .LBB0_15
; %bb.14:
	v_add_u32_e32 v56, 0x400, v141
	v_add_u32_e32 v60, 0xc00, v141
	;; [unrolled: 1-line block ×5, first 2 shown]
	ds_read2_b64 v[0:3], v141 offset0:52 offset1:148
	ds_read2_b64 v[56:59], v56 offset0:116 offset1:212
	ds_read2_b64 v[60:63], v60 offset0:52 offset1:148
	ds_read2_b64 v[64:67], v64 offset0:116 offset1:212
	ds_read2_b64 v[68:71], v68 offset0:52 offset1:148
	ds_read2_b64 v[72:75], v72 offset0:116 offset1:212
	ds_read_b64 v[136:137], v141 offset:9632
.LBB0_15:
	s_or_b64 exec, exec, s[2:3]
	v_and_b32_e32 v125, 3, v124
	v_mul_u32_u24_e32 v98, 12, v125
	v_lshlrev_b32_e32 v98, 4, v98
	global_load_dwordx4 v[150:153], v98, s[8:9] offset:32
	global_load_dwordx4 v[154:157], v98, s[8:9] offset:48
	;; [unrolled: 1-line block ×12, first 2 shown]
	s_mov_b32 s6, 0x4267c47c
	s_mov_b32 s7, 0xbfddbe06
	s_mov_b32 s16, 0xe00740e9
	s_mov_b32 s2, 0x42a4c3d2
	s_mov_b32 s4, 0x66966769
	s_mov_b32 s18, 0x2ef20147
	s_mov_b32 s22, 0x24c2f84
	s_mov_b32 s26, 0x4bc48dbf
	s_mov_b32 s17, 0x3fec55a7
	s_mov_b32 s3, 0xbfea55e2
	s_mov_b32 s5, 0xbfefc445
	s_mov_b32 s19, 0xbfedeba7
	s_mov_b32 s23, 0xbfe5384d
	s_mov_b32 s27, 0xbfcea1e5
	s_mov_b32 s10, 0x1ea71119
	s_mov_b32 s14, 0xebaa3ed8
	s_mov_b32 s20, 0xb2365da1
	s_mov_b32 s24, 0xd0032e0c
	s_mov_b32 s28, 0x93053d00
	s_mov_b32 s11, 0x3fe22d96
	s_mov_b32 s15, 0x3fbedb7d
	s_mov_b32 s21, 0xbfd6b1d8
	s_mov_b32 s25, 0xbfe7f3cc
	s_mov_b32 s29, 0xbfef11f4
	s_mov_b32 s31, 0x3fe5384d
	s_mov_b32 s30, s22
	s_mov_b32 s35, 0x3fefc445
	s_mov_b32 s34, s4
	s_mov_b32 s39, 0x3fddbe06
	s_mov_b32 s38, s6
	s_mov_b32 s37, 0x3fedeba7
	s_mov_b32 s36, s18
	s_mov_b32 s43, 0x3fcea1e5
	s_mov_b32 s42, s26
	s_mov_b32 s41, 0x3fea55e2
	s_mov_b32 s40, s2
	s_waitcnt lgkmcnt(0)
	; wave barrier
	s_waitcnt vmcnt(11) lgkmcnt(0)
	v_mul_f64 v[98:99], v[10:11], v[152:153]
	v_mul_f64 v[100:101], v[14:15], v[152:153]
	s_waitcnt vmcnt(10)
	v_mul_f64 v[102:103], v[92:93], v[156:157]
	s_waitcnt vmcnt(8)
	v_mul_f64 v[116:117], v[88:89], v[164:165]
	v_mul_f64 v[104:105], v[52:53], v[156:157]
	;; [unrolled: 1-line block ×3, first 2 shown]
	s_waitcnt vmcnt(7)
	v_mul_f64 v[198:199], v[90:91], v[168:169]
	v_mul_f64 v[230:231], v[2:3], v[152:153]
	v_fma_f64 v[122:123], v[14:15], v[150:151], v[98:99]
	s_waitcnt vmcnt(2)
	v_mul_f64 v[218:219], v[76:77], v[188:189]
	v_mul_f64 v[220:221], v[36:37], v[188:189]
	s_waitcnt vmcnt(0)
	v_mul_f64 v[228:229], v[132:133], v[196:197]
	v_mul_f64 v[222:223], v[78:79], v[192:193]
	v_mul_f64 v[224:225], v[38:39], v[192:193]
	v_mul_f64 v[226:227], v[96:97], v[196:197]
	v_fma_f64 v[130:131], v[10:11], v[150:151], -v[100:101]
	v_fma_f64 v[118:119], v[52:53], v[154:155], v[102:103]
	v_fma_f64 v[102:103], v[48:49], v[162:163], v[116:117]
	;; [unrolled: 1-line block ×3, first 2 shown]
	v_fma_f64 v[36:37], v[96:97], v[194:195], -v[228:229]
	v_mul_f64 v[106:107], v[94:95], v[160:161]
	v_mul_f64 v[200:201], v[50:51], v[168:169]
	;; [unrolled: 1-line block ×24, first 2 shown]
	v_fma_f64 v[112:113], v[92:93], v[154:155], -v[104:105]
	v_fma_f64 v[104:105], v[88:89], v[162:163], -v[120:121]
	v_fma_f64 v[48:49], v[50:51], v[166:167], v[198:199]
	v_add_f64 v[50:51], v[12:13], v[122:123]
	v_fma_f64 v[120:121], v[38:39], v[190:191], v[222:223]
	v_fma_f64 v[38:39], v[78:79], v[190:191], -v[224:225]
	v_fma_f64 v[132:133], v[132:133], v[194:195], v[226:227]
	v_fma_f64 v[92:93], v[6:7], v[150:151], v[230:231]
	v_add_f64 v[6:7], v[130:131], -v[36:37]
	v_mul_f64 v[108:109], v[54:55], v[160:161]
	v_mul_f64 v[234:235], v[58:59], v[160:161]
	;; [unrolled: 1-line block ×9, first 2 shown]
	v_fma_f64 v[114:115], v[54:55], v[158:159], v[106:107]
	v_add_f64 v[50:51], v[50:51], v[118:119]
	v_fma_f64 v[88:89], v[56:57], v[154:155], -v[156:157]
	v_fma_f64 v[78:79], v[60:61], v[162:163], -v[164:165]
	;; [unrolled: 1-line block ×4, first 2 shown]
	v_fma_f64 v[60:61], v[20:21], v[178:179], v[244:245]
	v_fma_f64 v[64:65], v[68:69], v[178:179], -v[180:181]
	v_fma_f64 v[66:67], v[22:23], v[182:183], v[246:247]
	v_fma_f64 v[68:69], v[70:71], v[182:183], -v[184:185]
	v_fma_f64 v[70:71], v[16:17], v[186:187], v[248:249]
	v_add_f64 v[16:17], v[122:123], v[132:133]
	v_add_f64 v[20:21], v[112:113], -v[38:39]
	v_mul_f64 v[22:23], v[6:7], s[6:7]
	v_mul_f64 v[168:169], v[30:31], v[168:169]
	v_fma_f64 v[110:111], v[94:95], v[158:159], -v[108:109]
	v_fma_f64 v[98:99], v[90:91], v[166:167], -v[200:201]
	v_fma_f64 v[10:11], v[44:45], v[170:171], v[202:203]
	v_fma_f64 v[44:45], v[84:85], v[170:171], -v[204:205]
	v_fma_f64 v[14:15], v[46:47], v[174:175], v[206:207]
	v_fma_f64 v[46:47], v[86:87], v[174:175], -v[208:209]
	v_fma_f64 v[106:107], v[82:83], v[182:183], -v[216:217]
	;; [unrolled: 1-line block ×4, first 2 shown]
	v_add_f64 v[2:3], v[50:51], v[114:115]
	v_fma_f64 v[86:87], v[32:33], v[154:155], v[232:233]
	v_fma_f64 v[82:83], v[58:59], v[158:159], -v[160:161]
	v_fma_f64 v[76:77], v[28:29], v[162:163], v[236:237]
	v_fma_f64 v[58:59], v[30:31], v[166:167], v[238:239]
	;; [unrolled: 1-line block ×5, first 2 shown]
	v_fma_f64 v[84:85], v[74:75], v[190:191], -v[192:193]
	v_fma_f64 v[74:75], v[136:137], v[194:195], -v[196:197]
	v_add_f64 v[18:19], v[118:119], v[120:121]
	v_mul_f64 v[24:25], v[6:7], s[2:3]
	v_mul_f64 v[26:27], v[6:7], s[4:5]
	v_mul_f64 v[28:29], v[6:7], s[18:19]
	v_mul_f64 v[30:31], v[6:7], s[22:23]
	v_mul_f64 v[6:7], v[6:7], s[26:27]
	v_mul_f64 v[32:33], v[20:21], s[2:3]
	v_fma_f64 v[136:137], v[16:17], s[16:17], v[22:23]
	v_fma_f64 v[22:23], v[16:17], s[16:17], -v[22:23]
	v_fma_f64 v[100:101], v[80:81], v[178:179], -v[212:213]
	v_fma_f64 v[80:81], v[34:35], v[158:159], v[234:235]
	v_fma_f64 v[96:97], v[134:135], v[194:195], v[252:253]
	v_mul_f64 v[34:35], v[20:21], s[18:19]
	v_mul_f64 v[134:135], v[20:21], s[26:27]
	v_fma_f64 v[150:151], v[16:17], s[10:11], v[24:25]
	v_fma_f64 v[24:25], v[16:17], s[10:11], -v[24:25]
	v_fma_f64 v[152:153], v[16:17], s[14:15], v[26:27]
	v_fma_f64 v[26:27], v[16:17], s[14:15], -v[26:27]
	;; [unrolled: 2-line block ×6, first 2 shown]
	v_add_f64 v[136:137], v[12:13], v[136:137]
	v_add_f64 v[22:23], v[12:13], v[22:23]
	;; [unrolled: 1-line block ×14, first 2 shown]
	v_fma_f64 v[22:23], v[18:19], s[20:21], v[34:35]
	v_fma_f64 v[32:33], v[18:19], s[20:21], -v[34:35]
	v_fma_f64 v[34:35], v[18:19], s[28:29], v[134:135]
	v_mul_f64 v[136:137], v[20:21], s[30:31]
	v_mul_f64 v[160:161], v[20:21], s[34:35]
	;; [unrolled: 1-line block ×3, first 2 shown]
	v_add_f64 v[162:163], v[114:115], v[116:117]
	v_fma_f64 v[42:43], v[42:43], v[182:183], v[214:215]
	v_add_f64 v[22:23], v[22:23], v[150:151]
	v_add_f64 v[24:25], v[32:33], v[24:25]
	;; [unrolled: 1-line block ×3, first 2 shown]
	v_fma_f64 v[34:35], v[18:19], s[28:29], -v[134:135]
	v_fma_f64 v[134:135], v[18:19], s[24:25], v[136:137]
	v_add_f64 v[150:151], v[110:111], -v[108:109]
	v_fma_f64 v[136:137], v[18:19], s[24:25], -v[136:137]
	v_fma_f64 v[152:153], v[18:19], s[14:15], v[160:161]
	v_fma_f64 v[160:161], v[18:19], s[14:15], -v[160:161]
	v_fma_f64 v[40:41], v[40:41], v[178:179], v[210:211]
	v_add_f64 v[2:3], v[2:3], v[102:103]
	v_add_f64 v[26:27], v[34:35], v[26:27]
	;; [unrolled: 1-line block ×3, first 2 shown]
	v_mul_f64 v[164:165], v[150:151], s[4:5]
	v_add_f64 v[28:29], v[136:137], v[28:29]
	v_add_f64 v[134:135], v[152:153], v[156:157]
	v_fma_f64 v[136:137], v[18:19], s[16:17], v[20:21]
	v_fma_f64 v[18:19], v[18:19], s[16:17], -v[20:21]
	v_mul_f64 v[152:153], v[150:151], s[26:27]
	v_mul_f64 v[156:157], v[150:151], s[36:37]
	v_add_f64 v[30:31], v[160:161], v[30:31]
	v_fma_f64 v[20:21], v[162:163], s[14:15], v[164:165]
	v_fma_f64 v[154:155], v[162:163], s[14:15], -v[164:165]
	v_add_f64 v[2:3], v[2:3], v[48:49]
	v_add_f64 v[136:137], v[136:137], v[158:159]
	;; [unrolled: 1-line block ×3, first 2 shown]
	v_mul_f64 v[18:19], v[150:151], s[38:39]
	v_fma_f64 v[158:159], v[162:163], s[28:29], v[152:153]
	v_fma_f64 v[152:153], v[162:163], s[28:29], -v[152:153]
	v_add_f64 v[12:13], v[20:21], v[12:13]
	v_add_f64 v[16:17], v[154:155], v[16:17]
	v_fma_f64 v[20:21], v[162:163], s[20:21], v[156:157]
	v_fma_f64 v[154:155], v[162:163], s[20:21], -v[156:157]
	v_mul_f64 v[156:157], v[150:151], s[2:3]
	v_fma_f64 v[160:161], v[162:163], s[16:17], v[18:19]
	v_fma_f64 v[18:19], v[162:163], s[16:17], -v[18:19]
	v_add_f64 v[24:25], v[152:153], v[24:25]
	v_add_f64 v[152:153], v[104:105], -v[106:107]
	v_mul_f64 v[150:151], v[150:151], s[22:23]
	v_add_f64 v[22:23], v[158:159], v[22:23]
	v_add_f64 v[20:21], v[20:21], v[32:33]
	;; [unrolled: 1-line block ×3, first 2 shown]
	v_fma_f64 v[32:33], v[162:163], s[10:11], v[156:157]
	v_add_f64 v[154:155], v[102:103], v[42:43]
	v_add_f64 v[18:19], v[18:19], v[28:29]
	v_mul_f64 v[158:159], v[152:153], s[18:19]
	v_fma_f64 v[28:29], v[162:163], s[10:11], -v[156:157]
	v_mul_f64 v[156:157], v[152:153], s[30:31]
	v_add_f64 v[34:35], v[160:161], v[34:35]
	v_fma_f64 v[160:161], v[162:163], s[24:25], v[150:151]
	v_fma_f64 v[150:151], v[162:163], s[24:25], -v[150:151]
	v_add_f64 v[32:33], v[32:33], v[134:135]
	v_mul_f64 v[134:135], v[152:153], s[38:39]
	v_fma_f64 v[162:163], v[154:155], s[20:21], v[158:159]
	v_fma_f64 v[158:159], v[154:155], s[20:21], -v[158:159]
	v_add_f64 v[28:29], v[28:29], v[30:31]
	v_fma_f64 v[30:31], v[154:155], s[24:25], v[156:157]
	v_fma_f64 v[156:157], v[154:155], s[24:25], -v[156:157]
	v_add_f64 v[6:7], v[150:151], v[6:7]
	v_mul_f64 v[150:151], v[152:153], s[4:5]
	v_fma_f64 v[164:165], v[154:155], s[16:17], v[134:135]
	v_add_f64 v[136:137], v[160:161], v[136:137]
	v_add_f64 v[16:17], v[158:159], v[16:17]
	v_add_f64 v[158:159], v[98:99], -v[100:101]
	v_add_f64 v[22:23], v[30:31], v[22:23]
	v_fma_f64 v[30:31], v[154:155], s[16:17], -v[134:135]
	v_mul_f64 v[134:135], v[152:153], s[42:43]
	v_add_f64 v[24:25], v[156:157], v[24:25]
	v_fma_f64 v[156:157], v[154:155], s[14:15], v[150:151]
	v_fma_f64 v[150:151], v[154:155], s[14:15], -v[150:151]
	v_mul_f64 v[152:153], v[152:153], s[40:41]
	v_add_f64 v[12:13], v[162:163], v[12:13]
	v_add_f64 v[160:161], v[48:49], v[40:41]
	;; [unrolled: 1-line block ×3, first 2 shown]
	v_fma_f64 v[30:31], v[154:155], s[28:29], v[134:135]
	v_mul_f64 v[162:163], v[158:159], s[22:23]
	v_add_f64 v[34:35], v[156:157], v[34:35]
	v_fma_f64 v[134:135], v[154:155], s[28:29], -v[134:135]
	v_add_f64 v[18:19], v[150:151], v[18:19]
	v_fma_f64 v[150:151], v[154:155], s[10:11], v[152:153]
	v_mul_f64 v[156:157], v[158:159], s[34:35]
	v_fma_f64 v[152:153], v[154:155], s[10:11], -v[152:153]
	v_add_f64 v[30:31], v[30:31], v[32:33]
	v_fma_f64 v[32:33], v[160:161], s[24:25], v[162:163]
	v_mul_f64 v[154:155], v[158:159], s[2:3]
	v_add_f64 v[2:3], v[2:3], v[10:11]
	v_add_f64 v[28:29], v[134:135], v[28:29]
	v_fma_f64 v[134:135], v[160:161], s[24:25], -v[162:163]
	v_add_f64 v[136:137], v[150:151], v[136:137]
	v_fma_f64 v[150:151], v[160:161], s[14:15], v[156:157]
	v_add_f64 v[6:7], v[152:153], v[6:7]
	v_fma_f64 v[152:153], v[160:161], s[14:15], -v[156:157]
	v_add_f64 v[20:21], v[164:165], v[20:21]
	v_add_f64 v[12:13], v[32:33], v[12:13]
	v_fma_f64 v[32:33], v[160:161], s[10:11], v[154:155]
	v_mul_f64 v[156:157], v[158:159], s[42:43]
	v_add_f64 v[2:3], v[2:3], v[14:15]
	v_add_f64 v[16:17], v[134:135], v[16:17]
	v_fma_f64 v[134:135], v[160:161], s[10:11], -v[154:155]
	v_add_f64 v[22:23], v[150:151], v[22:23]
	v_mul_f64 v[150:151], v[158:159], s[38:39]
	v_add_f64 v[24:25], v[152:153], v[24:25]
	v_add_f64 v[152:153], v[44:45], -v[46:47]
	v_add_f64 v[20:21], v[32:33], v[20:21]
	v_fma_f64 v[32:33], v[160:161], s[28:29], v[156:157]
	v_mul_f64 v[154:155], v[158:159], s[18:19]
	v_add_f64 v[2:3], v[2:3], v[40:41]
	v_add_f64 v[26:27], v[134:135], v[26:27]
	v_fma_f64 v[134:135], v[160:161], s[28:29], -v[156:157]
	v_fma_f64 v[156:157], v[160:161], s[16:17], v[150:151]
	v_add_f64 v[158:159], v[10:11], v[14:15]
	v_mul_f64 v[162:163], v[152:153], s[26:27]
	v_fma_f64 v[150:151], v[160:161], s[16:17], -v[150:151]
	v_add_f64 v[32:33], v[32:33], v[34:35]
	v_fma_f64 v[34:35], v[160:161], s[20:21], v[154:155]
	v_mul_f64 v[164:165], v[152:153], s[38:39]
	v_add_f64 v[2:3], v[2:3], v[42:43]
	v_fma_f64 v[154:155], v[160:161], s[20:21], -v[154:155]
	v_add_f64 v[18:19], v[134:135], v[18:19]
	v_fma_f64 v[134:135], v[158:159], s[28:29], v[162:163]
	v_add_f64 v[28:29], v[150:151], v[28:29]
	v_fma_f64 v[150:151], v[158:159], s[28:29], -v[162:163]
	v_add_f64 v[34:35], v[34:35], v[136:137]
	v_fma_f64 v[136:137], v[158:159], s[16:17], v[164:165]
	v_add_f64 v[2:3], v[2:3], v[116:117]
	v_add_f64 v[30:31], v[156:157], v[30:31]
	v_mul_f64 v[156:157], v[152:153], s[22:23]
	v_add_f64 v[6:7], v[154:155], v[6:7]
	v_fma_f64 v[154:155], v[158:159], s[16:17], -v[164:165]
	v_add_f64 v[12:13], v[134:135], v[12:13]
	v_mul_f64 v[134:135], v[152:153], s[40:41]
	v_add_f64 v[16:17], v[150:151], v[16:17]
	v_mul_f64 v[150:151], v[152:153], s[18:19]
	;; [unrolled: 2-line block ×3, first 2 shown]
	v_add_f64 v[2:3], v[2:3], v[120:121]
	v_fma_f64 v[152:153], v[158:159], s[24:25], v[156:157]
	v_add_f64 v[24:25], v[154:155], v[24:25]
	v_fma_f64 v[154:155], v[158:159], s[24:25], -v[156:157]
	v_fma_f64 v[156:157], v[158:159], s[10:11], v[134:135]
	v_fma_f64 v[160:161], v[158:159], s[20:21], v[150:151]
	v_fma_f64 v[134:135], v[158:159], s[10:11], -v[134:135]
	v_fma_f64 v[162:163], v[158:159], s[14:15], v[136:137]
	v_fma_f64 v[136:137], v[158:159], s[14:15], -v[136:137]
	v_fma_f64 v[150:151], v[158:159], s[20:21], -v[150:151]
	;; [unrolled: 1-line block ×4, first 2 shown]
	v_add_f64 v[2:3], v[2:3], v[132:133]
	v_add_f64 v[20:21], v[152:153], v[20:21]
	;; [unrolled: 1-line block ×8, first 2 shown]
	v_lshrrev_b32_e32 v134, 2, v124
	v_add_f64 v[26:27], v[154:155], v[26:27]
	v_mul_u32_u24_e32 v134, 52, v134
	v_or_b32_e32 v134, v134, v125
	v_lshl_add_u32 v135, v134, 3, 0
	v_lshrrev_b32_e32 v134, 2, v149
	ds_write2_b64 v135, v[2:3], v[12:13] offset1:4
	ds_write2_b64 v135, v[22:23], v[20:21] offset0:8 offset1:12
	ds_write2_b64 v135, v[32:33], v[30:31] offset0:16 offset1:20
	;; [unrolled: 1-line block ×5, first 2 shown]
	ds_write_b64 v135, v[16:17] offset:384
	s_and_saveexec_b64 s[44:45], s[0:1]
	s_cbranch_execz .LBB0_17
; %bb.16:
	v_add_f64 v[2:3], v[94:95], -v[74:75]
	v_add_f64 v[20:21], v[88:89], -v[84:85]
	v_add_f64 v[22:23], v[92:93], v[96:97]
	v_add_f64 v[32:33], v[82:83], -v[72:73]
	v_add_f64 v[34:35], v[86:87], v[90:91]
	;; [unrolled: 2-line block ×3, first 2 shown]
	v_add_f64 v[18:19], v[62:63], -v[64:65]
	v_mul_f64 v[24:25], v[2:3], s[26:27]
	v_mul_f64 v[136:137], v[20:21], s[38:39]
	v_add_f64 v[26:27], v[76:77], v[66:67]
	v_mul_f64 v[157:158], v[32:33], s[22:23]
	v_mul_f64 v[169:170], v[2:3], s[22:23]
	;; [unrolled: 1-line block ×3, first 2 shown]
	v_add_f64 v[12:13], v[54:55], -v[56:57]
	v_add_f64 v[16:17], v[58:59], v[60:61]
	v_fma_f64 v[151:152], v[22:23], s[28:29], -v[24:25]
	v_fma_f64 v[24:25], v[22:23], s[28:29], v[24:25]
	v_fma_f64 v[161:162], v[34:35], s[16:17], -v[136:137]
	v_fma_f64 v[136:137], v[34:35], s[16:17], v[136:137]
	v_fma_f64 v[171:172], v[30:31], s[24:25], -v[157:158]
	v_mul_f64 v[153:154], v[18:19], s[18:19]
	v_mul_f64 v[167:168], v[20:21], s[34:35]
	v_fma_f64 v[157:158], v[30:31], s[24:25], v[157:158]
	v_add_f64 v[151:152], v[4:5], v[151:152]
	v_add_f64 v[24:25], v[4:5], v[24:25]
	v_mul_f64 v[173:174], v[2:3], s[18:19]
	v_fma_f64 v[175:176], v[26:27], s[10:11], -v[155:156]
	v_fma_f64 v[177:178], v[22:23], s[24:25], -v[169:170]
	v_add_f64 v[6:7], v[50:51], v[52:53]
	v_mul_f64 v[149:150], v[12:13], s[34:35]
	v_mul_f64 v[165:166], v[32:33], s[2:3]
	v_add_f64 v[151:152], v[161:162], v[151:152]
	v_add_f64 v[24:25], v[136:137], v[24:25]
	v_mul_f64 v[161:162], v[20:21], s[30:31]
	v_fma_f64 v[155:156], v[26:27], s[10:11], v[155:156]
	v_fma_f64 v[179:180], v[34:35], s[14:15], -v[167:168]
	v_fma_f64 v[169:170], v[22:23], s[24:25], v[169:170]
	v_add_f64 v[177:178], v[4:5], v[177:178]
	v_mul_f64 v[163:164], v[28:29], s[42:43]
	v_add_f64 v[151:152], v[171:172], v[151:152]
	v_add_f64 v[24:25], v[157:158], v[24:25]
	v_fma_f64 v[171:172], v[16:17], s[20:21], -v[153:154]
	v_mul_f64 v[136:137], v[32:33], s[38:39]
	v_fma_f64 v[157:158], v[6:7], s[14:15], -v[149:150]
	v_fma_f64 v[153:154], v[16:17], s[20:21], v[153:154]
	v_fma_f64 v[167:168], v[34:35], s[14:15], v[167:168]
	v_add_f64 v[169:170], v[4:5], v[169:170]
	v_add_f64 v[151:152], v[175:176], v[151:152]
	v_fma_f64 v[175:176], v[22:23], s[20:21], -v[173:174]
	v_add_f64 v[24:25], v[155:156], v[24:25]
	v_fma_f64 v[155:156], v[30:31], s[10:11], -v[165:166]
	v_add_f64 v[177:178], v[179:180], v[177:178]
	v_mul_f64 v[159:160], v[18:19], s[38:39]
	v_fma_f64 v[165:166], v[30:31], s[10:11], v[165:166]
	v_add_f64 v[167:168], v[167:168], v[169:170]
	v_add_f64 v[151:152], v[171:172], v[151:152]
	v_fma_f64 v[171:172], v[34:35], s[24:25], -v[161:162]
	v_add_f64 v[175:176], v[4:5], v[175:176]
	v_add_f64 v[24:25], v[153:154], v[24:25]
	v_fma_f64 v[153:154], v[26:27], s[28:29], -v[163:164]
	v_add_f64 v[155:156], v[155:156], v[177:178]
	v_fma_f64 v[169:170], v[30:31], s[16:17], -v[136:137]
	v_fma_f64 v[149:150], v[6:7], s[14:15], v[149:150]
	v_add_f64 v[151:152], v[157:158], v[151:152]
	v_mul_f64 v[157:158], v[28:29], s[4:5]
	v_add_f64 v[171:172], v[171:172], v[175:176]
	v_fma_f64 v[163:164], v[26:27], s[28:29], v[163:164]
	v_add_f64 v[165:166], v[165:166], v[167:168]
	v_fma_f64 v[167:168], v[16:17], s[16:17], -v[159:160]
	v_add_f64 v[153:154], v[153:154], v[155:156]
	v_mul_f64 v[155:156], v[18:19], s[42:43]
	v_add_f64 v[24:25], v[149:150], v[24:25]
	v_fma_f64 v[177:178], v[26:27], s[14:15], -v[157:158]
	v_add_f64 v[169:170], v[169:170], v[171:172]
	v_mul_f64 v[149:150], v[12:13], s[18:19]
	v_fma_f64 v[159:160], v[16:17], s[16:17], v[159:160]
	v_add_f64 v[163:164], v[163:164], v[165:166]
	v_mul_f64 v[165:166], v[12:13], s[40:41]
	v_add_f64 v[153:154], v[167:168], v[153:154]
	v_fma_f64 v[167:168], v[16:17], s[28:29], -v[155:156]
	v_mul_f64 v[171:172], v[2:3], s[4:5]
	v_fma_f64 v[173:174], v[22:23], s[20:21], v[173:174]
	v_add_f64 v[169:170], v[177:178], v[169:170]
	v_fma_f64 v[175:176], v[6:7], s[20:21], -v[149:150]
	v_add_f64 v[159:160], v[159:160], v[163:164]
	v_fma_f64 v[163:164], v[6:7], s[10:11], -v[165:166]
	v_fma_f64 v[161:162], v[34:35], s[24:25], v[161:162]
	v_mul_f64 v[177:178], v[20:21], s[26:27]
	v_fma_f64 v[179:180], v[22:23], s[14:15], -v[171:172]
	v_add_f64 v[173:174], v[4:5], v[173:174]
	v_add_f64 v[167:168], v[167:168], v[169:170]
	v_fma_f64 v[149:150], v[6:7], s[20:21], v[149:150]
	v_add_f64 v[153:154], v[175:176], v[153:154]
	v_fma_f64 v[136:137], v[30:31], s[16:17], v[136:137]
	v_fma_f64 v[157:158], v[26:27], s[14:15], v[157:158]
	v_fma_f64 v[169:170], v[34:35], s[28:29], -v[177:178]
	v_add_f64 v[175:176], v[4:5], v[179:180]
	v_add_f64 v[161:162], v[161:162], v[173:174]
	v_add_f64 v[163:164], v[163:164], v[167:168]
	v_fma_f64 v[167:168], v[22:23], s[14:15], v[171:172]
	v_add_f64 v[149:150], v[149:150], v[159:160]
	v_mul_f64 v[159:160], v[32:33], s[36:37]
	v_mul_f64 v[171:172], v[28:29], s[38:39]
	v_fma_f64 v[155:156], v[16:17], s[28:29], v[155:156]
	v_add_f64 v[169:170], v[169:170], v[175:176]
	v_add_f64 v[136:137], v[136:137], v[161:162]
	v_fma_f64 v[161:162], v[34:35], s[28:29], v[177:178]
	v_add_f64 v[167:168], v[4:5], v[167:168]
	v_add_f64 v[175:176], v[4:5], v[92:93]
	v_fma_f64 v[173:174], v[30:31], s[20:21], -v[159:160]
	v_mul_f64 v[177:178], v[18:19], s[2:3]
	v_fma_f64 v[179:180], v[26:27], s[16:17], -v[171:172]
	v_mul_f64 v[185:186], v[28:29], s[30:31]
	v_add_f64 v[136:137], v[157:158], v[136:137]
	v_fma_f64 v[157:158], v[30:31], s[20:21], v[159:160]
	v_add_f64 v[159:160], v[161:162], v[167:168]
	v_add_f64 v[167:168], v[175:176], v[86:87]
	;; [unrolled: 1-line block ×3, first 2 shown]
	v_mul_f64 v[175:176], v[2:3], s[2:3]
	v_fma_f64 v[173:174], v[16:17], s[10:11], -v[177:178]
	v_mul_f64 v[2:3], v[2:3], s[6:7]
	v_add_f64 v[136:137], v[155:156], v[136:137]
	v_fma_f64 v[155:156], v[26:27], s[16:17], v[171:172]
	v_add_f64 v[157:158], v[157:158], v[159:160]
	v_add_f64 v[167:168], v[167:168], v[80:81]
	;; [unrolled: 1-line block ×3, first 2 shown]
	v_mul_f64 v[171:172], v[20:21], s[18:19]
	v_fma_f64 v[179:180], v[22:23], s[10:11], -v[175:176]
	v_mul_f64 v[20:21], v[20:21], s[2:3]
	v_fma_f64 v[191:192], v[22:23], s[16:17], v[2:3]
	v_fma_f64 v[175:176], v[22:23], s[10:11], v[175:176]
	v_add_f64 v[155:156], v[155:156], v[157:158]
	v_add_f64 v[167:168], v[167:168], v[76:77]
	v_add_f64 v[169:170], v[173:174], v[169:170]
	v_fma_f64 v[173:174], v[16:17], s[10:11], v[177:178]
	v_mul_f64 v[157:158], v[32:33], s[26:27]
	v_fma_f64 v[177:178], v[34:35], s[20:21], -v[171:172]
	v_add_f64 v[179:180], v[4:5], v[179:180]
	v_fma_f64 v[2:3], v[22:23], s[16:17], -v[2:3]
	v_mul_f64 v[22:23], v[32:33], s[4:5]
	v_add_f64 v[167:168], v[167:168], v[58:59]
	v_fma_f64 v[32:33], v[34:35], s[10:11], v[20:21]
	v_add_f64 v[155:156], v[173:174], v[155:156]
	v_fma_f64 v[173:174], v[30:31], s[28:29], -v[157:158]
	v_fma_f64 v[171:172], v[34:35], s[20:21], v[171:172]
	v_add_f64 v[177:178], v[177:178], v[179:180]
	v_add_f64 v[175:176], v[4:5], v[175:176]
	v_fma_f64 v[20:21], v[34:35], s[10:11], -v[20:21]
	v_add_f64 v[167:168], v[167:168], v[50:51]
	v_add_f64 v[2:3], v[4:5], v[2:3]
	v_fma_f64 v[157:158], v[30:31], s[28:29], v[157:158]
	v_mul_f64 v[183:184], v[18:19], s[34:35]
	v_mul_f64 v[18:19], v[18:19], s[22:23]
	v_add_f64 v[173:174], v[173:174], v[177:178]
	v_add_f64 v[177:178], v[4:5], v[191:192]
	v_mul_f64 v[4:5], v[28:29], s[18:19]
	v_add_f64 v[167:168], v[167:168], v[52:53]
	v_fma_f64 v[28:29], v[30:31], s[14:15], v[22:23]
	v_fma_f64 v[22:23], v[30:31], s[14:15], -v[22:23]
	v_add_f64 v[2:3], v[20:21], v[2:3]
	v_fma_f64 v[189:190], v[26:27], s[24:25], -v[185:186]
	v_mul_f64 v[161:162], v[12:13], s[22:23]
	v_add_f64 v[32:33], v[32:33], v[177:178]
	v_fma_f64 v[20:21], v[26:27], s[20:21], v[4:5]
	v_add_f64 v[34:35], v[167:168], v[60:61]
	v_add_f64 v[167:168], v[171:172], v[175:176]
	v_fma_f64 v[171:172], v[26:27], s[24:25], v[185:186]
	v_fma_f64 v[4:5], v[26:27], s[20:21], -v[4:5]
	v_add_f64 v[2:3], v[22:23], v[2:3]
	v_mul_f64 v[181:182], v[12:13], s[38:39]
	v_add_f64 v[28:29], v[28:29], v[32:33]
	v_mul_f64 v[12:13], v[12:13], s[26:27]
	v_add_f64 v[30:31], v[34:35], v[66:67]
	v_add_f64 v[32:33], v[157:158], v[167:168]
	v_fma_f64 v[22:23], v[16:17], s[24:25], v[18:19]
	v_fma_f64 v[34:35], v[16:17], s[14:15], v[183:184]
	v_fma_f64 v[187:188], v[16:17], s[14:15], -v[183:184]
	v_fma_f64 v[16:17], v[16:17], s[24:25], -v[18:19]
	v_add_f64 v[20:21], v[20:21], v[28:29]
	v_add_f64 v[2:3], v[4:5], v[2:3]
	;; [unrolled: 1-line block ×5, first 2 shown]
	v_fma_f64 v[18:19], v[6:7], s[28:29], v[12:13]
	v_fma_f64 v[159:160], v[6:7], s[24:25], -v[161:162]
	v_fma_f64 v[161:162], v[6:7], s[24:25], v[161:162]
	v_add_f64 v[20:21], v[22:23], v[20:21]
	v_fma_f64 v[4:5], v[6:7], s[16:17], v[181:182]
	v_add_f64 v[22:23], v[26:27], v[90:91]
	v_add_f64 v[26:27], v[34:35], v[28:29]
	v_fma_f64 v[165:166], v[6:7], s[10:11], v[165:166]
	v_fma_f64 v[179:180], v[6:7], s[16:17], -v[181:182]
	v_add_f64 v[28:29], v[187:188], v[30:31]
	v_fma_f64 v[6:7], v[6:7], s[28:29], -v[12:13]
	v_add_f64 v[2:3], v[16:17], v[2:3]
	v_add_f64 v[18:19], v[18:19], v[20:21]
	;; [unrolled: 1-line block ×9, first 2 shown]
	v_mul_u32_u24_e32 v6, 52, v134
	v_or_b32_e32 v6, v6, v125
	v_lshl_add_u32 v6, v6, 3, 0
	ds_write2_b64 v6, v[20:21], v[18:19] offset1:4
	ds_write2_b64 v6, v[4:5], v[16:17] offset0:8 offset1:12
	ds_write2_b64 v6, v[12:13], v[149:150] offset0:16 offset1:20
	;; [unrolled: 1-line block ×5, first 2 shown]
	ds_write_b64 v6, v[2:3] offset:384
.LBB0_17:
	s_or_b64 exec, exec, s[44:45]
	v_add_f64 v[2:3], v[8:9], v[130:131]
	v_add_f64 v[4:5], v[130:131], v[36:37]
	v_add_f64 v[6:7], v[122:123], -v[132:133]
	v_add_f64 v[12:13], v[112:113], v[38:39]
	v_add_f64 v[16:17], v[118:119], -v[120:121]
	;; [unrolled: 2-line block ×3, first 2 shown]
	v_add_f64 v[42:43], v[102:103], -v[42:43]
	v_add_f64 v[2:3], v[2:3], v[112:113]
	v_mul_f64 v[22:23], v[4:5], s[16:17]
	v_mul_f64 v[24:25], v[4:5], s[10:11]
	;; [unrolled: 1-line block ×7, first 2 shown]
	v_add_f64 v[2:3], v[2:3], v[110:111]
	v_mul_f64 v[34:35], v[12:13], s[20:21]
	v_fma_f64 v[130:131], v[6:7], s[38:39], v[22:23]
	v_fma_f64 v[22:23], v[6:7], s[6:7], v[22:23]
	;; [unrolled: 1-line block ×4, first 2 shown]
	v_mul_f64 v[110:111], v[12:13], s[28:29]
	v_mul_f64 v[112:113], v[12:13], s[24:25]
	v_add_f64 v[2:3], v[2:3], v[104:105]
	v_mul_f64 v[114:115], v[12:13], s[14:15]
	v_mul_f64 v[12:13], v[12:13], s[16:17]
	;; [unrolled: 1-line block ×4, first 2 shown]
	v_fma_f64 v[136:137], v[6:7], s[34:35], v[26:27]
	v_fma_f64 v[26:27], v[6:7], s[4:5], v[26:27]
	;; [unrolled: 1-line block ×3, first 2 shown]
	v_add_f64 v[2:3], v[2:3], v[98:99]
	v_fma_f64 v[28:29], v[6:7], s[18:19], v[28:29]
	v_fma_f64 v[151:152], v[6:7], s[30:31], v[30:31]
	;; [unrolled: 1-line block ×7, first 2 shown]
	v_add_f64 v[2:3], v[2:3], v[44:45]
	v_fma_f64 v[155:156], v[16:17], s[36:37], v[34:35]
	v_fma_f64 v[34:35], v[16:17], s[18:19], v[34:35]
	v_add_f64 v[130:131], v[8:9], v[130:131]
	v_add_f64 v[22:23], v[8:9], v[22:23]
	;; [unrolled: 1-line block ×4, first 2 shown]
	v_mul_f64 v[120:121], v[18:19], s[20:21]
	v_add_f64 v[2:3], v[2:3], v[46:47]
	v_mul_f64 v[122:123], v[18:19], s[16:17]
	v_fma_f64 v[157:158], v[16:17], s[42:43], v[110:111]
	v_fma_f64 v[110:111], v[16:17], s[26:27], v[110:111]
	;; [unrolled: 1-line block ×6, first 2 shown]
	v_add_f64 v[2:3], v[2:3], v[100:101]
	v_fma_f64 v[163:164], v[16:17], s[6:7], v[12:13]
	v_fma_f64 v[12:13], v[16:17], s[38:39], v[12:13]
	;; [unrolled: 1-line block ×5, first 2 shown]
	v_add_f64 v[136:137], v[8:9], v[136:137]
	v_add_f64 v[26:27], v[8:9], v[26:27]
	;; [unrolled: 1-line block ×21, first 2 shown]
	v_mul_f64 v[16:17], v[18:19], s[10:11]
	v_add_f64 v[22:23], v[118:119], v[24:25]
	v_add_f64 v[24:25], v[104:105], v[106:107]
	v_fma_f64 v[104:105], v[20:21], s[38:39], v[122:123]
	v_mul_f64 v[18:19], v[18:19], s[24:25]
	v_add_f64 v[110:111], v[2:3], v[36:37]
	v_fma_f64 v[2:3], v[20:21], s[36:37], v[120:121]
	v_fma_f64 v[36:37], v[20:21], s[6:7], v[122:123]
	;; [unrolled: 1-line block ×3, first 2 shown]
	v_add_f64 v[38:39], v[161:162], v[151:152]
	v_add_f64 v[30:31], v[114:115], v[30:31]
	v_mul_f64 v[102:103], v[24:25], s[20:21]
	v_add_f64 v[28:29], v[104:105], v[28:29]
	v_fma_f64 v[104:105], v[20:21], s[30:31], v[18:19]
	v_add_f64 v[2:3], v[2:3], v[26:27]
	v_fma_f64 v[26:27], v[20:21], s[40:41], v[16:17]
	v_fma_f64 v[16:17], v[20:21], s[2:3], v[16:17]
	v_add_f64 v[34:35], v[36:37], v[34:35]
	v_mul_f64 v[36:37], v[24:25], s[24:25]
	v_fma_f64 v[18:19], v[20:21], s[22:23], v[18:19]
	v_fma_f64 v[167:168], v[20:21], s[18:19], v[120:121]
	v_add_f64 v[32:33], v[157:158], v[136:137]
	v_add_f64 v[8:9], v[116:117], v[8:9]
	;; [unrolled: 1-line block ×3, first 2 shown]
	v_fma_f64 v[26:27], v[42:43], s[36:37], v[102:103]
	v_add_f64 v[16:17], v[16:17], v[30:31]
	v_mul_f64 v[30:31], v[24:25], s[16:17]
	v_fma_f64 v[38:39], v[42:43], s[18:19], v[102:103]
	v_add_f64 v[4:5], v[18:19], v[4:5]
	v_fma_f64 v[18:19], v[42:43], s[30:31], v[36:37]
	v_add_f64 v[32:33], v[167:168], v[32:33]
	;; [unrolled: 2-line block ×3, first 2 shown]
	v_mul_f64 v[26:27], v[24:25], s[14:15]
	v_fma_f64 v[36:37], v[42:43], s[6:7], v[30:31]
	v_add_f64 v[8:9], v[38:39], v[8:9]
	v_fma_f64 v[30:31], v[42:43], s[38:39], v[30:31]
	v_mul_f64 v[38:39], v[24:25], s[28:29]
	v_add_f64 v[18:19], v[18:19], v[22:23]
	v_add_f64 v[22:23], v[98:99], v[100:101]
	v_mul_f64 v[24:25], v[24:25], s[10:11]
	v_fma_f64 v[98:99], v[42:43], s[34:35], v[26:27]
	v_add_f64 v[32:33], v[36:37], v[32:33]
	v_fma_f64 v[26:27], v[42:43], s[4:5], v[26:27]
	v_add_f64 v[2:3], v[30:31], v[2:3]
	v_fma_f64 v[30:31], v[42:43], s[26:27], v[38:39]
	v_add_f64 v[36:37], v[48:49], -v[40:41]
	v_mul_f64 v[40:41], v[22:23], s[24:25]
	v_fma_f64 v[38:39], v[42:43], s[42:43], v[38:39]
	v_mul_f64 v[48:49], v[22:23], s[14:15]
	v_add_f64 v[108:109], v[163:164], v[153:154]
	v_add_f64 v[26:27], v[26:27], v[28:29]
	v_fma_f64 v[28:29], v[42:43], s[2:3], v[24:25]
	v_fma_f64 v[24:25], v[42:43], s[40:41], v[24:25]
	v_add_f64 v[20:21], v[30:31], v[20:21]
	v_fma_f64 v[30:31], v[36:37], s[30:31], v[40:41]
	v_mul_f64 v[42:43], v[22:23], s[10:11]
	v_add_f64 v[12:13], v[102:103], v[12:13]
	v_add_f64 v[16:17], v[38:39], v[16:17]
	v_fma_f64 v[38:39], v[36:37], s[22:23], v[40:41]
	v_fma_f64 v[40:41], v[36:37], s[4:5], v[48:49]
	v_add_f64 v[4:5], v[24:25], v[4:5]
	v_fma_f64 v[24:25], v[36:37], s[34:35], v[48:49]
	v_add_f64 v[6:7], v[30:31], v[6:7]
	v_fma_f64 v[30:31], v[36:37], s[40:41], v[42:43]
	v_mul_f64 v[48:49], v[22:23], s[28:29]
	v_add_f64 v[104:105], v[104:105], v[108:109]
	v_add_f64 v[34:35], v[98:99], v[34:35]
	;; [unrolled: 1-line block ×3, first 2 shown]
	v_mul_f64 v[40:41], v[22:23], s[16:17]
	v_add_f64 v[18:19], v[24:25], v[18:19]
	v_add_f64 v[24:25], v[44:45], v[46:47]
	;; [unrolled: 1-line block ×3, first 2 shown]
	v_fma_f64 v[32:33], v[36:37], s[26:27], v[48:49]
	v_mul_f64 v[22:23], v[22:23], s[20:21]
	v_add_f64 v[8:9], v[38:39], v[8:9]
	v_fma_f64 v[38:39], v[36:37], s[2:3], v[42:43]
	v_add_f64 v[28:29], v[28:29], v[104:105]
	v_add_f64 v[10:11], v[10:11], -v[14:15]
	v_mul_f64 v[14:15], v[24:25], s[28:29]
	v_mul_f64 v[44:45], v[24:25], s[16:17]
	v_add_f64 v[32:33], v[32:33], v[34:35]
	v_fma_f64 v[34:35], v[36:37], s[36:37], v[22:23]
	v_fma_f64 v[42:43], v[36:37], s[6:7], v[40:41]
	v_add_f64 v[2:3], v[38:39], v[2:3]
	v_fma_f64 v[38:39], v[36:37], s[42:43], v[48:49]
	v_fma_f64 v[40:41], v[36:37], s[38:39], v[40:41]
	;; [unrolled: 1-line block ×5, first 2 shown]
	v_add_f64 v[28:29], v[34:35], v[28:29]
	v_fma_f64 v[34:35], v[10:11], s[6:7], v[44:45]
	v_add_f64 v[20:21], v[42:43], v[20:21]
	v_add_f64 v[26:27], v[38:39], v[26:27]
	v_mul_f64 v[38:39], v[24:25], s[24:25]
	v_add_f64 v[4:5], v[22:23], v[4:5]
	v_fma_f64 v[22:23], v[10:11], s[38:39], v[44:45]
	v_add_f64 v[104:105], v[36:37], v[6:7]
	v_mul_f64 v[6:7], v[24:25], s[10:11]
	v_add_f64 v[106:107], v[14:15], v[8:9]
	v_mul_f64 v[8:9], v[24:25], s[20:21]
	;; [unrolled: 2-line block ×3, first 2 shown]
	v_fma_f64 v[14:15], v[10:11], s[30:31], v[38:39]
	v_add_f64 v[16:17], v[40:41], v[16:17]
	v_add_f64 v[112:113], v[22:23], v[18:19]
	v_fma_f64 v[18:19], v[10:11], s[22:23], v[38:39]
	v_fma_f64 v[22:23], v[10:11], s[2:3], v[6:7]
	v_fma_f64 v[6:7], v[10:11], s[40:41], v[6:7]
	v_fma_f64 v[24:25], v[10:11], s[36:37], v[8:9]
	v_fma_f64 v[8:9], v[10:11], s[18:19], v[8:9]
	v_fma_f64 v[34:35], v[10:11], s[4:5], v[12:13]
	v_fma_f64 v[10:11], v[10:11], s[34:35], v[12:13]
	v_add_f64 v[114:115], v[14:15], v[30:31]
	v_add_u32_e32 v98, 0x1000, v141
	v_add_u32_e32 v99, 0x1400, v141
	;; [unrolled: 1-line block ×6, first 2 shown]
	v_add_f64 v[116:117], v[18:19], v[2:3]
	v_add_f64 v[118:119], v[22:23], v[32:33]
	;; [unrolled: 1-line block ×7, first 2 shown]
	s_waitcnt lgkmcnt(0)
	; wave barrier
	s_waitcnt lgkmcnt(0)
	ds_read2_b64 v[18:21], v141 offset1:52
	ds_read2_b64 v[46:49], v98 offset0:112 offset1:164
	ds_read2_b64 v[22:25], v141 offset0:104 offset1:156
	;; [unrolled: 1-line block ×11, first 2 shown]
	s_movk_i32 s44, 0x1000
	s_movk_i32 s33, 0x2000
	s_waitcnt lgkmcnt(0)
	; wave barrier
	s_waitcnt lgkmcnt(0)
	ds_write2_b64 v135, v[110:111], v[104:105] offset1:4
	ds_write2_b64 v135, v[108:109], v[114:115] offset0:8 offset1:12
	ds_write2_b64 v135, v[118:119], v[122:123] offset0:16 offset1:20
	;; [unrolled: 1-line block ×5, first 2 shown]
	ds_write_b64 v135, v[106:107] offset:384
	s_and_saveexec_b64 s[2:3], s[0:1]
	s_cbranch_execz .LBB0_19
; %bb.18:
	v_add_f64 v[104:105], v[0:1], v[94:95]
	v_add_f64 v[92:93], v[92:93], -v[96:97]
	v_add_f64 v[86:87], v[86:87], -v[90:91]
	v_add_f64 v[94:95], v[94:95], v[74:75]
	s_mov_b32 s10, 0xe00740e9
	s_mov_b32 s14, 0x1ea71119
	;; [unrolled: 1-line block ×4, first 2 shown]
	v_add_f64 v[96:97], v[104:105], v[88:89]
	s_mov_b32 s36, 0xd0032e0c
	s_mov_b32 s42, 0x93053d00
	s_mov_b32 s11, 0x3fec55a7
	s_mov_b32 s15, 0x3fe22d96
	s_mov_b32 s21, 0x3fbedb7d
	s_mov_b32 s29, 0xbfd6b1d8
	s_mov_b32 s37, 0xbfe7f3cc
	v_add_f64 v[96:97], v[96:97], v[82:83]
	s_mov_b32 s43, 0xbfef11f4
	v_add_f64 v[88:89], v[88:89], v[84:85]
	v_mul_f64 v[104:105], v[94:95], s[14:15]
	v_mul_f64 v[106:107], v[94:95], s[20:21]
	;; [unrolled: 1-line block ×4, first 2 shown]
	s_mov_b32 s4, 0x4267c47c
	v_add_f64 v[96:97], v[96:97], v[78:79]
	s_mov_b32 s0, 0x42a4c3d2
	s_mov_b32 s16, 0x66966769
	;; [unrolled: 1-line block ×7, first 2 shown]
	v_add_f64 v[96:97], v[96:97], v[62:63]
	s_mov_b32 s1, 0x3fea55e2
	s_mov_b32 s7, 0xbfea55e2
	s_mov_b32 s17, 0x3fefc445
	s_mov_b32 s23, 0xbfefc445
	s_mov_b32 s25, 0x3fedeba7
	s_mov_b32 s27, 0xbfedeba7
	s_mov_b32 s31, 0x3fe5384d
	v_add_f64 v[90:91], v[96:97], v[54:55]
	v_mul_f64 v[96:97], v[94:95], s[10:11]
	v_mul_f64 v[94:95], v[94:95], s[42:43]
	s_mov_b32 s35, 0xbfe5384d
	s_mov_b32 s39, 0x3fcea1e5
	;; [unrolled: 1-line block ×5, first 2 shown]
	v_add_f64 v[90:91], v[90:91], v[56:57]
	s_mov_b32 s22, s16
	s_mov_b32 s26, s24
	;; [unrolled: 1-line block ×4, first 2 shown]
	v_mul_f64 v[112:113], v[88:89], s[14:15]
	v_fma_f64 v[118:119], v[92:93], s[4:5], v[96:97]
	v_fma_f64 v[96:97], v[92:93], s[18:19], v[96:97]
	v_add_f64 v[90:91], v[90:91], v[64:65]
	v_fma_f64 v[120:121], v[92:93], s[0:1], v[104:105]
	v_fma_f64 v[104:105], v[92:93], s[6:7], v[104:105]
	;; [unrolled: 1-line block ×7, first 2 shown]
	v_add_f64 v[90:91], v[90:91], v[68:69]
	v_fma_f64 v[110:111], v[92:93], s[34:35], v[110:111]
	v_fma_f64 v[135:136], v[92:93], s[38:39], v[94:95]
	;; [unrolled: 1-line block ×3, first 2 shown]
	v_mul_f64 v[114:115], v[88:89], s[28:29]
	v_mul_f64 v[116:117], v[88:89], s[42:43]
	v_fma_f64 v[94:95], v[86:87], s[0:1], v[112:113]
	v_add_f64 v[118:119], v[0:1], v[118:119]
	v_add_f64 v[90:91], v[90:91], v[72:73]
	;; [unrolled: 1-line block ×8, first 2 shown]
	v_fma_f64 v[149:150], v[86:87], s[24:25], v[114:115]
	v_add_f64 v[84:85], v[90:91], v[84:85]
	v_add_f64 v[90:91], v[0:1], v[106:107]
	;; [unrolled: 1-line block ×6, first 2 shown]
	v_mul_f64 v[92:93], v[88:89], s[36:37]
	v_fma_f64 v[114:115], v[86:87], s[26:27], v[114:115]
	v_add_f64 v[74:75], v[84:85], v[74:75]
	v_add_f64 v[84:85], v[94:95], v[118:119]
	v_fma_f64 v[94:95], v[86:87], s[38:39], v[116:117]
	v_fma_f64 v[116:117], v[86:87], s[40:41], v[116:117]
	v_mul_f64 v[118:119], v[88:89], s[20:21]
	v_add_f64 v[72:73], v[82:83], v[72:73]
	v_fma_f64 v[82:83], v[86:87], s[34:35], v[92:93]
	v_fma_f64 v[112:113], v[86:87], s[6:7], v[112:113]
	v_add_f64 v[104:105], v[114:115], v[104:105]
	v_fma_f64 v[92:93], v[86:87], s[30:31], v[92:93]
	v_mul_f64 v[88:89], v[88:89], s[10:11]
	v_add_f64 v[90:91], v[116:117], v[90:91]
	v_fma_f64 v[114:115], v[86:87], s[22:23], v[118:119]
	v_add_f64 v[70:71], v[80:81], -v[70:71]
	v_mul_f64 v[80:81], v[72:73], s[20:21]
	v_add_f64 v[82:83], v[82:83], v[106:107]
	v_fma_f64 v[106:107], v[86:87], s[16:17], v[118:119]
	v_mul_f64 v[116:117], v[72:73], s[42:43]
	v_add_f64 v[96:97], v[112:113], v[96:97]
	v_add_f64 v[112:113], v[149:150], v[120:121]
	;; [unrolled: 1-line block ×3, first 2 shown]
	v_fma_f64 v[108:109], v[86:87], s[18:19], v[88:89]
	v_fma_f64 v[86:87], v[86:87], s[4:5], v[88:89]
	v_add_f64 v[88:89], v[114:115], v[130:131]
	v_fma_f64 v[114:115], v[70:71], s[16:17], v[80:81]
	v_mul_f64 v[118:119], v[72:73], s[28:29]
	v_add_f64 v[106:107], v[106:107], v[110:111]
	v_fma_f64 v[80:81], v[70:71], s[22:23], v[80:81]
	v_fma_f64 v[110:111], v[70:71], s[38:39], v[116:117]
	v_add_f64 v[94:95], v[94:95], v[122:123]
	v_add_f64 v[0:1], v[86:87], v[0:1]
	v_fma_f64 v[86:87], v[70:71], s[40:41], v[116:117]
	v_add_f64 v[84:85], v[114:115], v[84:85]
	v_fma_f64 v[114:115], v[70:71], s[26:27], v[118:119]
	v_mul_f64 v[116:117], v[72:73], s[10:11]
	v_add_f64 v[80:81], v[80:81], v[96:97]
	v_fma_f64 v[96:97], v[70:71], s[24:25], v[118:119]
	v_add_f64 v[110:111], v[110:111], v[112:113]
	v_mul_f64 v[112:113], v[72:73], s[14:15]
	v_add_f64 v[68:69], v[78:79], v[68:69]
	v_add_f64 v[86:87], v[86:87], v[104:105]
	;; [unrolled: 1-line block ×3, first 2 shown]
	v_fma_f64 v[94:95], v[70:71], s[18:19], v[116:117]
	v_fma_f64 v[104:105], v[70:71], s[4:5], v[116:117]
	v_add_f64 v[90:91], v[96:97], v[90:91]
	v_mul_f64 v[72:73], v[72:73], s[36:37]
	v_fma_f64 v[96:97], v[70:71], s[0:1], v[112:113]
	v_add_f64 v[66:67], v[76:77], -v[66:67]
	v_mul_f64 v[76:77], v[68:69], s[28:29]
	v_fma_f64 v[112:113], v[70:71], s[6:7], v[112:113]
	v_add_f64 v[82:83], v[94:95], v[82:83]
	v_add_f64 v[92:93], v[104:105], v[92:93]
	v_mul_f64 v[94:95], v[68:69], s[36:37]
	v_fma_f64 v[104:105], v[70:71], s[30:31], v[72:73]
	v_fma_f64 v[70:71], v[70:71], s[34:35], v[72:73]
	v_add_f64 v[72:73], v[96:97], v[88:89]
	v_fma_f64 v[88:89], v[66:67], s[24:25], v[76:77]
	v_add_f64 v[108:109], v[108:109], v[132:133]
	v_add_f64 v[96:97], v[112:113], v[106:107]
	v_mul_f64 v[106:107], v[68:69], s[10:11]
	v_fma_f64 v[112:113], v[66:67], s[34:35], v[94:95]
	v_add_f64 v[62:63], v[62:63], v[64:65]
	v_add_f64 v[0:1], v[70:71], v[0:1]
	v_fma_f64 v[70:71], v[66:67], s[30:31], v[94:95]
	v_add_f64 v[84:85], v[88:89], v[84:85]
	v_mul_f64 v[88:89], v[68:69], s[20:21]
	v_add_f64 v[104:105], v[104:105], v[108:109]
	v_fma_f64 v[94:95], v[66:67], s[18:19], v[106:107]
	v_fma_f64 v[106:107], v[66:67], s[4:5], v[106:107]
	v_mul_f64 v[108:109], v[68:69], s[42:43]
	v_mul_f64 v[68:69], v[68:69], s[14:15]
	v_add_f64 v[70:71], v[70:71], v[86:87]
	v_fma_f64 v[76:77], v[66:67], s[26:27], v[76:77]
	v_fma_f64 v[64:65], v[66:67], s[16:17], v[88:89]
	;; [unrolled: 1-line block ×3, first 2 shown]
	v_add_f64 v[58:59], v[58:59], -v[60:61]
	v_add_f64 v[88:89], v[106:107], v[90:91]
	v_fma_f64 v[90:91], v[66:67], s[40:41], v[108:109]
	v_mul_f64 v[60:61], v[62:63], s[36:37]
	v_add_f64 v[78:79], v[94:95], v[78:79]
	v_mul_f64 v[94:95], v[62:63], s[20:21]
	v_add_f64 v[64:65], v[64:65], v[82:83]
	v_fma_f64 v[82:83], v[66:67], s[38:39], v[108:109]
	v_add_f64 v[86:87], v[86:87], v[92:93]
	v_fma_f64 v[92:93], v[66:67], s[6:7], v[68:69]
	v_fma_f64 v[66:67], v[66:67], s[0:1], v[68:69]
	v_add_f64 v[76:77], v[76:77], v[80:81]
	v_add_f64 v[68:69], v[90:91], v[72:73]
	v_fma_f64 v[72:73], v[58:59], s[30:31], v[60:61]
	v_mul_f64 v[90:91], v[62:63], s[14:15]
	v_fma_f64 v[60:61], v[58:59], s[34:35], v[60:61]
	v_add_f64 v[82:83], v[82:83], v[96:97]
	v_fma_f64 v[96:97], v[58:59], s[22:23], v[94:95]
	v_add_f64 v[0:1], v[66:67], v[0:1]
	v_fma_f64 v[66:67], v[58:59], s[16:17], v[94:95]
	v_mul_f64 v[94:95], v[62:63], s[42:43]
	v_add_f64 v[72:73], v[72:73], v[84:85]
	v_fma_f64 v[84:85], v[58:59], s[0:1], v[90:91]
	v_add_f64 v[60:61], v[60:61], v[76:77]
	v_fma_f64 v[76:77], v[58:59], s[6:7], v[90:91]
	v_mul_f64 v[90:91], v[62:63], s[10:11]
	v_add_f64 v[54:55], v[54:55], v[56:57]
	v_add_f64 v[66:67], v[66:67], v[70:71]
	v_fma_f64 v[70:71], v[58:59], s[40:41], v[94:95]
	v_mul_f64 v[62:63], v[62:63], s[28:29]
	v_add_f64 v[56:57], v[84:85], v[78:79]
	v_add_f64 v[50:51], v[50:51], -v[52:53]
	v_add_f64 v[76:77], v[76:77], v[88:89]
	v_fma_f64 v[84:85], v[58:59], s[18:19], v[90:91]
	v_mul_f64 v[52:53], v[54:55], s[42:43]
	v_fma_f64 v[78:79], v[58:59], s[38:39], v[94:95]
	v_fma_f64 v[88:89], v[58:59], s[4:5], v[90:91]
	v_add_f64 v[64:65], v[70:71], v[64:65]
	v_fma_f64 v[70:71], v[58:59], s[24:25], v[62:63]
	v_fma_f64 v[58:59], v[58:59], s[26:27], v[62:63]
	v_mul_f64 v[62:63], v[54:55], s[10:11]
	v_add_f64 v[80:81], v[112:113], v[110:111]
	v_add_f64 v[68:69], v[84:85], v[68:69]
	v_fma_f64 v[84:85], v[50:51], s[38:39], v[52:53]
	v_fma_f64 v[52:53], v[50:51], s[40:41], v[52:53]
	v_add_f64 v[78:79], v[78:79], v[86:87]
	v_mul_f64 v[86:87], v[54:55], s[36:37]
	v_add_f64 v[0:1], v[58:59], v[0:1]
	v_fma_f64 v[58:59], v[50:51], s[18:19], v[62:63]
	v_fma_f64 v[62:63], v[50:51], s[4:5], v[62:63]
	v_add_f64 v[80:81], v[96:97], v[80:81]
	v_add_f64 v[72:73], v[84:85], v[72:73]
	v_mul_f64 v[84:85], v[54:55], s[14:15]
	v_add_f64 v[52:53], v[52:53], v[60:61]
	v_mul_f64 v[60:61], v[54:55], s[28:29]
	;; [unrolled: 2-line block ×3, first 2 shown]
	v_add_f64 v[62:63], v[62:63], v[66:67]
	v_fma_f64 v[66:67], v[50:51], s[30:31], v[86:87]
	v_add_f64 v[82:83], v[88:89], v[82:83]
	v_add_f64 v[58:59], v[58:59], v[80:81]
	v_fma_f64 v[80:81], v[50:51], s[34:35], v[86:87]
	v_fma_f64 v[86:87], v[50:51], s[6:7], v[84:85]
	;; [unrolled: 1-line block ×3, first 2 shown]
	v_add_f64 v[70:71], v[70:71], v[92:93]
	v_fma_f64 v[90:91], v[50:51], s[22:23], v[54:55]
	v_fma_f64 v[54:55], v[50:51], s[16:17], v[54:55]
	;; [unrolled: 1-line block ×4, first 2 shown]
	v_add_f64 v[56:57], v[66:67], v[56:57]
	v_add_f64 v[64:65], v[86:87], v[64:65]
	;; [unrolled: 1-line block ×8, first 2 shown]
	v_mul_u32_u24_e32 v54, 52, v134
	v_or_b32_e32 v54, v54, v125
	v_lshl_add_u32 v54, v54, 3, 0
	ds_write2_b64 v54, v[74:75], v[72:73] offset1:4
	ds_write2_b64 v54, v[58:59], v[56:57] offset0:8 offset1:12
	ds_write2_b64 v54, v[64:65], v[68:69] offset0:16 offset1:20
	ds_write2_b64 v54, v[70:71], v[0:1] offset0:24 offset1:28
	ds_write2_b64 v54, v[50:51], v[66:67] offset0:32 offset1:36
	ds_write2_b64 v54, v[60:61], v[62:63] offset0:40 offset1:44
	ds_write_b64 v54, v[52:53] offset:384
.LBB0_19:
	s_or_b64 exec, exec, s[2:3]
	v_mov_b32_e32 v125, 0
	v_lshlrev_b64 v[50:51], 4, v[124:125]
	v_mov_b32_e32 v174, s9
	v_add_co_u32_e64 v52, s[0:1], s8, v50
	v_addc_co_u32_e64 v53, s[0:1], v174, v51, s[0:1]
	s_movk_i32 s0, 0x4f
	v_mul_lo_u16_sdwa v0, v148, s0 dst_sel:DWORD dst_unused:UNUSED_PAD src0_sel:BYTE_0 src1_sel:DWORD
	v_lshrrev_b16_e32 v0, 12, v0
	v_mul_lo_u16_e32 v0, 52, v0
	v_sub_u16_e32 v0, v148, v0
	v_and_b32_e32 v175, 0xff, v0
	v_lshlrev_b32_e32 v0, 4, v175
	s_waitcnt lgkmcnt(0)
	; wave barrier
	s_waitcnt lgkmcnt(0)
	global_load_dwordx4 v[54:57], v[52:53], off offset:800
	global_load_dwordx4 v[58:61], v0, s[8:9] offset:800
	v_mul_lo_u16_sdwa v0, v147, s0 dst_sel:DWORD dst_unused:UNUSED_PAD src0_sel:BYTE_0 src1_sel:DWORD
	s_movk_i32 s0, 0x4ec5
	v_lshrrev_b16_e32 v0, 12, v0
	v_mul_u32_u24_sdwa v177, v145, s0 dst_sel:DWORD dst_unused:UNUSED_PAD src0_sel:WORD_0 src1_sel:DWORD
	v_mul_lo_u16_e32 v0, 52, v0
	v_lshrrev_b32_e32 v1, 20, v177
	v_sub_u16_e32 v0, v147, v0
	v_mul_lo_u16_e32 v1, 52, v1
	v_and_b32_e32 v176, 0xff, v0
	v_sub_u16_e32 v178, v145, v1
	v_lshlrev_b32_e32 v0, 4, v176
	v_lshlrev_b32_e32 v1, 4, v178
	v_mul_u32_u24_sdwa v179, v144, s0 dst_sel:DWORD dst_unused:UNUSED_PAD src0_sel:WORD_0 src1_sel:DWORD
	v_mul_u32_u24_sdwa v181, v142, s0 dst_sel:DWORD dst_unused:UNUSED_PAD src0_sel:WORD_0 src1_sel:DWORD
	global_load_dwordx4 v[62:65], v0, s[8:9] offset:800
	global_load_dwordx4 v[66:69], v1, s[8:9] offset:800
	v_lshrrev_b32_e32 v0, 20, v179
	v_lshrrev_b32_e32 v1, 20, v181
	v_mul_lo_u16_e32 v0, 52, v0
	v_mul_lo_u16_e32 v1, 52, v1
	v_sub_u16_e32 v180, v144, v0
	v_sub_u16_e32 v182, v142, v1
	v_lshlrev_b32_e32 v0, 4, v180
	v_lshlrev_b32_e32 v1, 4, v182
	v_mul_u32_u24_sdwa v183, v143, s0 dst_sel:DWORD dst_unused:UNUSED_PAD src0_sel:WORD_0 src1_sel:DWORD
	global_load_dwordx4 v[70:73], v0, s[8:9] offset:800
	global_load_dwordx4 v[74:77], v1, s[8:9] offset:800
	v_lshrrev_b32_e32 v0, 20, v183
	v_mul_u32_u24_sdwa v1, v146, s0 dst_sel:DWORD dst_unused:UNUSED_PAD src0_sel:WORD_0 src1_sel:DWORD
	v_mul_lo_u16_e32 v0, 52, v0
	v_lshrrev_b32_e32 v1, 20, v1
	v_sub_u16_e32 v184, v143, v0
	v_mul_lo_u16_e32 v1, 52, v1
	v_lshlrev_b32_e32 v0, 4, v184
	v_sub_u16_e32 v185, v146, v1
	v_lshlrev_b32_e32 v1, 4, v185
	global_load_dwordx4 v[78:81], v0, s[8:9] offset:800
	global_load_dwordx4 v[82:85], v1, s[8:9] offset:800
	v_mul_u32_u24_sdwa v0, v140, s0 dst_sel:DWORD dst_unused:UNUSED_PAD src0_sel:WORD_0 src1_sel:DWORD
	v_lshrrev_b32_e32 v0, 20, v0
	v_mul_u32_u24_sdwa v1, v139, s0 dst_sel:DWORD dst_unused:UNUSED_PAD src0_sel:WORD_0 src1_sel:DWORD
	v_mul_lo_u16_e32 v0, 52, v0
	v_lshrrev_b32_e32 v1, 20, v1
	v_sub_u16_e32 v186, v140, v0
	v_mul_lo_u16_e32 v1, 52, v1
	v_lshlrev_b32_e32 v0, 4, v186
	v_sub_u16_e32 v187, v139, v1
	v_lshlrev_b32_e32 v1, 4, v187
	global_load_dwordx4 v[86:89], v0, s[8:9] offset:800
	global_load_dwordx4 v[90:93], v1, s[8:9] offset:800
	v_mul_u32_u24_sdwa v0, v138, s0 dst_sel:DWORD dst_unused:UNUSED_PAD src0_sel:WORD_0 src1_sel:DWORD
	v_lshrrev_b32_e32 v0, 20, v0
	v_mul_lo_u16_e32 v0, 52, v0
	v_sub_u16_e32 v188, v138, v0
	v_lshlrev_b32_e32 v0, 4, v188
	global_load_dwordx4 v[94:97], v0, s[8:9] offset:800
	ds_read2_b64 v[104:107], v141 offset1:52
	ds_read2_b64 v[108:111], v98 offset0:112 offset1:164
	ds_read2_b64 v[112:115], v141 offset0:104 offset1:156
	;; [unrolled: 1-line block ×11, first 2 shown]
	s_waitcnt lgkmcnt(0)
	; wave barrier
	s_waitcnt lgkmcnt(0)
	s_mov_b32 s3, 0x3febb67a
	s_waitcnt vmcnt(10)
	v_mul_f64 v[0:1], v[108:109], v[56:57]
	v_mul_f64 v[166:167], v[46:47], v[56:57]
	;; [unrolled: 1-line block ×4, first 2 shown]
	s_waitcnt vmcnt(9)
	v_mul_f64 v[170:171], v[116:117], v[60:61]
	v_mul_f64 v[60:61], v[42:43], v[60:61]
	v_fma_f64 v[0:1], v[46:47], v[54:55], v[0:1]
	v_fma_f64 v[46:47], v[108:109], v[54:55], -v[166:167]
	v_fma_f64 v[48:49], v[48:49], v[54:55], v[168:169]
	v_fma_f64 v[54:55], v[110:111], v[54:55], -v[56:57]
	;; [unrolled: 2-line block ×3, first 2 shown]
	s_waitcnt vmcnt(8)
	v_mul_f64 v[172:173], v[118:119], v[64:65]
	v_mul_f64 v[64:65], v[44:45], v[64:65]
	s_waitcnt vmcnt(7)
	v_mul_f64 v[60:61], v[130:131], v[68:69]
	v_add_f64 v[0:1], v[18:19], -v[0:1]
	v_add_f64 v[42:43], v[22:23], -v[42:43]
	v_fma_f64 v[44:45], v[44:45], v[62:63], v[172:173]
	v_fma_f64 v[58:59], v[118:119], v[62:63], -v[64:65]
	v_mul_f64 v[62:63], v[38:39], v[68:69]
	s_waitcnt vmcnt(6)
	v_mul_f64 v[64:65], v[132:133], v[72:73]
	v_mul_f64 v[68:69], v[40:41], v[72:73]
	s_waitcnt vmcnt(5)
	v_mul_f64 v[72:73], v[146:147], v[76:77]
	v_mul_f64 v[76:77], v[34:35], v[76:77]
	v_fma_f64 v[38:39], v[38:39], v[66:67], v[60:61]
	v_fma_f64 v[18:19], v[18:19], 2.0, -v[0:1]
	v_add_f64 v[44:45], v[24:25], -v[44:45]
	v_fma_f64 v[60:61], v[130:131], v[66:67], -v[62:63]
	v_fma_f64 v[40:41], v[40:41], v[70:71], v[64:65]
	s_waitcnt vmcnt(4)
	v_mul_f64 v[108:109], v[148:149], v[80:81]
	v_mul_f64 v[80:81], v[36:37], v[80:81]
	v_fma_f64 v[64:65], v[146:147], v[74:75], -v[76:77]
	v_fma_f64 v[62:63], v[132:133], v[70:71], -v[68:69]
	v_fma_f64 v[34:35], v[34:35], v[74:75], v[72:73]
	s_waitcnt vmcnt(3)
	v_mul_f64 v[68:69], v[154:155], v[84:85]
	v_mul_f64 v[70:71], v[30:31], v[84:85]
	v_add_f64 v[38:39], v[10:11], -v[38:39]
	v_fma_f64 v[36:37], v[36:37], v[78:79], v[108:109]
	v_fma_f64 v[66:67], v[148:149], v[78:79], -v[80:81]
	v_add_f64 v[40:41], v[12:13], -v[40:41]
	s_waitcnt vmcnt(2)
	v_mul_f64 v[72:73], v[156:157], v[88:89]
	s_waitcnt vmcnt(1)
	v_mul_f64 v[76:77], v[162:163], v[92:93]
	v_mul_f64 v[78:79], v[26:27], v[92:93]
	v_mul_f64 v[74:75], v[32:33], v[88:89]
	v_fma_f64 v[30:31], v[30:31], v[82:83], v[68:69]
	v_fma_f64 v[68:69], v[154:155], v[82:83], -v[70:71]
	v_add_f64 v[34:35], v[14:15], -v[34:35]
	s_waitcnt vmcnt(0)
	v_mul_f64 v[80:81], v[164:165], v[96:97]
	v_mul_f64 v[84:85], v[28:29], v[96:97]
	v_fma_f64 v[26:27], v[26:27], v[90:91], v[76:77]
	v_add_f64 v[76:77], v[104:105], -v[46:47]
	v_add_f64 v[46:47], v[20:21], -v[48:49]
	v_fma_f64 v[32:33], v[32:33], v[86:87], v[72:73]
	v_add_f64 v[48:49], v[106:107], -v[54:55]
	v_fma_f64 v[70:71], v[156:157], v[86:87], -v[74:75]
	v_fma_f64 v[28:29], v[28:29], v[94:95], v[80:81]
	v_fma_f64 v[72:73], v[162:163], v[90:91], -v[78:79]
	v_fma_f64 v[74:75], v[164:165], v[94:95], -v[84:85]
	v_add_f64 v[36:37], v[16:17], -v[36:37]
	v_fma_f64 v[20:21], v[20:21], 2.0, -v[46:47]
	v_add_f64 v[30:31], v[2:3], -v[30:31]
	v_add_f64 v[32:33], v[4:5], -v[32:33]
	;; [unrolled: 1-line block ×8, first 2 shown]
	ds_write2_b64 v141, v[18:19], v[0:1] offset1:52
	ds_write2_b64 v141, v[20:21], v[46:47] offset0:104 offset1:156
	v_lshl_add_u32 v0, v175, 3, 0
	v_fma_f64 v[78:79], v[106:107], 2.0, -v[48:49]
	v_add_f64 v[64:65], v[134:135], -v[64:65]
	v_add_u32_e32 v106, 0x400, v0
	v_lshl_add_u32 v0, v176, 3, 0
	v_add_f64 v[66:67], v[136:137], -v[66:67]
	v_add_u32_e32 v107, 0x800, v0
	v_lshl_add_u32 v0, v178, 3, 0
	v_fma_f64 v[58:59], v[104:105], 2.0, -v[76:77]
	v_fma_f64 v[22:23], v[22:23], 2.0, -v[42:43]
	;; [unrolled: 1-line block ×7, first 2 shown]
	v_add_f64 v[68:69], v[150:151], -v[68:69]
	v_add_f64 v[70:71], v[152:153], -v[70:71]
	;; [unrolled: 1-line block ×4, first 2 shown]
	v_fma_f64 v[2:3], v[2:3], 2.0, -v[30:31]
	v_fma_f64 v[4:5], v[4:5], 2.0, -v[32:33]
	;; [unrolled: 1-line block ×4, first 2 shown]
	v_add_u32_e32 v108, 0x800, v0
	v_lshl_add_u32 v0, v180, 3, 0
	v_add_u32_e32 v109, 0x1000, v0
	v_lshl_add_u32 v0, v182, 3, 0
	v_fma_f64 v[80:81], v[112:113], 2.0, -v[54:55]
	v_add_u32_e32 v110, 0x1000, v0
	v_lshl_add_u32 v0, v184, 3, 0
	v_fma_f64 v[82:83], v[114:115], 2.0, -v[56:57]
	;; [unrolled: 3-line block ×6, first 2 shown]
	v_add_u32_e32 v115, 0x2000, v0
	v_mov_b32_e32 v130, v125
	v_fma_f64 v[92:93], v[150:151], 2.0, -v[68:69]
	v_fma_f64 v[94:95], v[152:153], 2.0, -v[70:71]
	;; [unrolled: 1-line block ×4, first 2 shown]
	ds_write2_b64 v106, v[22:23], v[42:43] offset0:80 offset1:132
	ds_write2_b64 v107, v[24:25], v[44:45] offset0:56 offset1:108
	;; [unrolled: 1-line block ×10, first 2 shown]
	s_waitcnt lgkmcnt(0)
	; wave barrier
	s_waitcnt lgkmcnt(0)
	ds_read2_b64 v[4:7], v141 offset1:52
	ds_read2_b64 v[8:11], v103 offset0:160 offset1:212
	ds_read2_b64 v[12:15], v100 offset0:64 offset1:116
	;; [unrolled: 1-line block ×11, first 2 shown]
	s_waitcnt lgkmcnt(0)
	; wave barrier
	s_waitcnt lgkmcnt(0)
	ds_write2_b64 v141, v[58:59], v[76:77] offset1:52
	ds_write2_b64 v141, v[78:79], v[48:49] offset0:104 offset1:156
	ds_write2_b64 v106, v[80:81], v[54:55] offset0:80 offset1:132
	ds_write2_b64 v107, v[82:83], v[56:57] offset0:56 offset1:108
	ds_write2_b64 v108, v[84:85], v[60:61] offset0:160 offset1:212
	ds_write2_b64 v109, v[86:87], v[62:63] offset0:8 offset1:60
	ds_write2_b64 v110, v[88:89], v[64:65] offset0:112 offset1:164
	ds_write2_b64 v111, v[90:91], v[66:67] offset0:88 offset1:140
	ds_write2_b64 v112, v[92:93], v[68:69] offset0:64 offset1:116
	ds_write2_b64 v113, v[94:95], v[70:71] offset0:168 offset1:220
	ds_write2_b64 v114, v[96:97], v[72:73] offset0:16 offset1:68
	ds_write2_b64 v115, v[104:105], v[74:75] offset0:120 offset1:172
	v_lshlrev_b64 v[48:49], 4, v[129:130]
	s_waitcnt lgkmcnt(0)
	v_add_co_u32_e64 v48, s[0:1], s8, v48
	v_addc_co_u32_e64 v49, s[0:1], v174, v49, s[0:1]
	; wave barrier
	global_load_dwordx4 v[54:57], v[48:49], off offset:1632
	global_load_dwordx4 v[58:61], v[48:49], off offset:1648
	v_mov_b32_e32 v129, v125
	v_lshlrev_b64 v[48:49], 4, v[128:129]
	v_add_co_u32_e64 v48, s[0:1], s8, v48
	v_addc_co_u32_e64 v49, s[0:1], v174, v49, s[0:1]
	global_load_dwordx4 v[62:65], v[48:49], off offset:1632
	global_load_dwordx4 v[66:69], v[48:49], off offset:1648
	v_lshrrev_b32_e32 v48, 21, v177
	v_mul_lo_u16_e32 v48, 0x68, v48
	v_sub_u16_e32 v174, v145, v48
	v_lshlrev_b32_e32 v48, 5, v174
	global_load_dwordx4 v[70:73], v48, s[8:9] offset:1632
	global_load_dwordx4 v[74:77], v48, s[8:9] offset:1648
	v_lshrrev_b32_e32 v48, 21, v179
	v_mul_lo_u16_e32 v48, 0x68, v48
	v_sub_u16_e32 v175, v144, v48
	v_lshlrev_b32_e32 v48, 5, v175
	global_load_dwordx4 v[78:81], v48, s[8:9] offset:1648
	global_load_dwordx4 v[82:85], v48, s[8:9] offset:1632
	;; [unrolled: 6-line block ×4, first 2 shown]
	ds_read2_b64 v[108:111], v141 offset1:52
	ds_read2_b64 v[112:115], v103 offset0:160 offset1:212
	ds_read2_b64 v[116:119], v100 offset0:64 offset1:116
	;; [unrolled: 1-line block ×11, first 2 shown]
	s_mov_b32 s0, 0xe8584caa
	s_mov_b32 s1, 0xbfebb67a
	;; [unrolled: 1-line block ×3, first 2 shown]
	s_waitcnt lgkmcnt(0)
	; wave barrier
	s_waitcnt vmcnt(11) lgkmcnt(0)
	v_mul_f64 v[48:49], v[112:113], v[56:57]
	v_mul_f64 v[136:137], v[8:9], v[56:57]
	;; [unrolled: 1-line block ×4, first 2 shown]
	s_waitcnt vmcnt(10)
	v_mul_f64 v[166:167], v[116:117], v[60:61]
	v_fma_f64 v[8:9], v[8:9], v[54:55], v[48:49]
	v_mul_f64 v[48:49], v[12:13], v[60:61]
	v_fma_f64 v[112:113], v[112:113], v[54:55], -v[136:137]
	s_waitcnt vmcnt(9)
	v_mul_f64 v[136:137], v[114:115], v[64:65]
	v_mul_f64 v[168:169], v[10:11], v[64:65]
	v_fma_f64 v[20:21], v[20:21], v[54:55], v[172:173]
	v_fma_f64 v[54:55], v[128:129], v[54:55], -v[56:57]
	v_mul_f64 v[56:57], v[130:131], v[64:65]
	v_mul_f64 v[64:65], v[22:23], v[64:65]
	v_fma_f64 v[48:49], v[116:117], v[58:59], -v[48:49]
	v_mul_f64 v[116:117], v[132:133], v[60:61]
	v_mul_f64 v[60:61], v[24:25], v[60:61]
	v_fma_f64 v[12:13], v[12:13], v[58:59], v[166:167]
	s_waitcnt vmcnt(8)
	v_mul_f64 v[166:167], v[118:119], v[68:69]
	v_mul_f64 v[170:171], v[14:15], v[68:69]
	v_fma_f64 v[10:11], v[10:11], v[62:63], v[136:137]
	v_fma_f64 v[114:115], v[114:115], v[62:63], -v[168:169]
	s_waitcnt vmcnt(7)
	v_mul_f64 v[128:129], v[146:147], v[72:73]
	v_fma_f64 v[24:25], v[24:25], v[58:59], v[116:117]
	v_mul_f64 v[116:117], v[134:135], v[68:69]
	v_mul_f64 v[68:69], v[26:27], v[68:69]
	v_fma_f64 v[58:59], v[132:133], v[58:59], -v[60:61]
	v_mul_f64 v[60:61], v[32:33], v[72:73]
	v_fma_f64 v[22:23], v[22:23], v[62:63], v[56:57]
	v_fma_f64 v[56:57], v[130:131], v[62:63], -v[64:65]
	s_waitcnt vmcnt(6)
	v_mul_f64 v[62:63], v[150:151], v[76:77]
	v_fma_f64 v[14:15], v[14:15], v[66:67], v[166:167]
	v_fma_f64 v[118:119], v[118:119], v[66:67], -v[170:171]
	v_fma_f64 v[26:27], v[26:27], v[66:67], v[116:117]
	v_fma_f64 v[64:65], v[134:135], v[66:67], -v[68:69]
	v_fma_f64 v[32:33], v[32:33], v[70:71], v[128:129]
	v_mul_f64 v[66:67], v[36:37], v[76:77]
	v_fma_f64 v[60:61], v[146:147], v[70:71], -v[60:61]
	s_waitcnt vmcnt(4)
	v_mul_f64 v[68:69], v[148:149], v[84:85]
	v_mul_f64 v[70:71], v[34:35], v[84:85]
	v_fma_f64 v[36:37], v[36:37], v[74:75], v[62:63]
	v_mul_f64 v[62:63], v[152:153], v[80:81]
	v_mul_f64 v[72:73], v[38:39], v[80:81]
	s_waitcnt vmcnt(3)
	v_mul_f64 v[76:77], v[158:159], v[88:89]
	s_waitcnt vmcnt(0)
	v_mul_f64 v[80:81], v[164:165], v[106:107]
	v_fma_f64 v[66:67], v[150:151], v[74:75], -v[66:67]
	v_mul_f64 v[74:75], v[40:41], v[88:89]
	v_fma_f64 v[34:35], v[34:35], v[82:83], v[68:69]
	v_fma_f64 v[68:69], v[148:149], v[82:83], -v[70:71]
	v_mul_f64 v[70:71], v[162:163], v[92:93]
	v_fma_f64 v[38:39], v[38:39], v[78:79], v[62:63]
	v_fma_f64 v[62:63], v[152:153], v[78:79], -v[72:73]
	v_fma_f64 v[40:41], v[40:41], v[86:87], v[76:77]
	v_mul_f64 v[76:77], v[160:161], v[96:97]
	v_add_f64 v[78:79], v[8:9], v[12:13]
	v_mul_f64 v[82:83], v[46:47], v[106:107]
	v_fma_f64 v[46:47], v[46:47], v[104:105], v[80:81]
	v_add_f64 v[80:81], v[112:113], v[48:49]
	v_mul_f64 v[72:73], v[44:45], v[92:93]
	v_fma_f64 v[74:75], v[158:159], v[86:87], -v[74:75]
	v_fma_f64 v[44:45], v[44:45], v[90:91], v[70:71]
	v_mul_f64 v[70:71], v[42:43], v[96:97]
	v_add_f64 v[84:85], v[4:5], v[8:9]
	v_fma_f64 v[42:43], v[42:43], v[94:95], v[76:77]
	v_fma_f64 v[4:5], v[78:79], -0.5, v[4:5]
	v_add_f64 v[76:77], v[112:113], -v[48:49]
	v_add_f64 v[86:87], v[108:109], v[112:113]
	v_add_f64 v[88:89], v[10:11], v[14:15]
	v_fma_f64 v[80:81], v[80:81], -0.5, v[108:109]
	v_add_f64 v[8:9], v[8:9], -v[12:13]
	v_fma_f64 v[78:79], v[164:165], v[104:105], -v[82:83]
	v_add_f64 v[82:83], v[84:85], v[12:13]
	v_add_f64 v[12:13], v[6:7], v[10:11]
	v_fma_f64 v[84:85], v[76:77], s[0:1], v[4:5]
	v_fma_f64 v[4:5], v[76:77], s[2:3], v[4:5]
	v_add_f64 v[48:49], v[86:87], v[48:49]
	v_add_f64 v[76:77], v[114:115], v[118:119]
	v_fma_f64 v[6:7], v[88:89], -0.5, v[6:7]
	v_add_f64 v[86:87], v[114:115], -v[118:119]
	v_fma_f64 v[88:89], v[8:9], s[2:3], v[80:81]
	v_fma_f64 v[80:81], v[8:9], s[0:1], v[80:81]
	v_add_f64 v[8:9], v[110:111], v[114:115]
	v_fma_f64 v[72:73], v[162:163], v[90:91], -v[72:73]
	v_add_f64 v[12:13], v[12:13], v[14:15]
	v_add_f64 v[90:91], v[20:21], v[24:25]
	v_fma_f64 v[76:77], v[76:77], -0.5, v[110:111]
	v_add_f64 v[10:11], v[10:11], -v[14:15]
	v_fma_f64 v[14:15], v[86:87], s[0:1], v[6:7]
	v_fma_f64 v[6:7], v[86:87], s[2:3], v[6:7]
	v_add_f64 v[86:87], v[16:17], v[20:21]
	v_add_f64 v[92:93], v[8:9], v[118:119]
	;; [unrolled: 1-line block ×3, first 2 shown]
	v_fma_f64 v[70:71], v[160:161], v[94:95], -v[70:71]
	v_fma_f64 v[16:17], v[90:91], -0.5, v[16:17]
	v_add_f64 v[90:91], v[54:55], -v[58:59]
	v_fma_f64 v[94:95], v[10:11], s[2:3], v[76:77]
	v_fma_f64 v[76:77], v[10:11], s[0:1], v[76:77]
	v_add_f64 v[10:11], v[120:121], v[54:55]
	v_add_f64 v[54:55], v[86:87], v[24:25]
	v_add_f64 v[86:87], v[22:23], v[26:27]
	v_fma_f64 v[8:9], v[8:9], -0.5, v[120:121]
	v_add_f64 v[20:21], v[20:21], -v[24:25]
	v_fma_f64 v[24:25], v[90:91], s[0:1], v[16:17]
	v_fma_f64 v[16:17], v[90:91], s[2:3], v[16:17]
	v_add_f64 v[90:91], v[18:19], v[22:23]
	v_add_f64 v[58:59], v[10:11], v[58:59]
	v_add_f64 v[10:11], v[56:57], v[64:65]
	;; [unrolled: 7-line block ×4, first 2 shown]
	v_fma_f64 v[28:29], v[56:57], -0.5, v[28:29]
	v_add_f64 v[56:57], v[60:61], -v[66:67]
	v_add_f64 v[60:61], v[142:143], v[60:61]
	v_fma_f64 v[90:91], v[22:23], s[2:3], v[10:11]
	v_fma_f64 v[106:107], v[22:23], s[0:1], v[10:11]
	v_add_f64 v[10:11], v[86:87], v[36:37]
	v_add_f64 v[32:33], v[32:33], -v[36:37]
	v_fma_f64 v[8:9], v[8:9], -0.5, v[142:143]
	v_add_f64 v[22:23], v[34:35], v[38:39]
	v_fma_f64 v[36:37], v[56:57], s[0:1], v[28:29]
	v_fma_f64 v[28:29], v[56:57], s[2:3], v[28:29]
	v_add_f64 v[56:57], v[60:61], v[66:67]
	v_add_f64 v[60:61], v[68:69], v[62:63]
	;; [unrolled: 1-line block ×4, first 2 shown]
	v_fma_f64 v[86:87], v[32:33], s[2:3], v[8:9]
	v_fma_f64 v[110:111], v[32:33], s[0:1], v[8:9]
	v_add_f64 v[8:9], v[144:145], v[68:69]
	v_add_f64 v[34:35], v[34:35], -v[38:39]
	v_fma_f64 v[22:23], v[22:23], -0.5, v[30:31]
	v_fma_f64 v[32:33], v[60:61], -0.5, v[144:145]
	v_add_f64 v[30:31], v[68:69], -v[62:63]
	v_add_f64 v[38:39], v[66:67], v[38:39]
	v_add_f64 v[66:67], v[0:1], v[40:41]
	v_fma_f64 v[0:1], v[108:109], -0.5, v[0:1]
	v_add_f64 v[68:69], v[74:75], -v[72:73]
	v_add_f64 v[62:63], v[8:9], v[62:63]
	v_add_f64 v[8:9], v[74:75], v[72:73]
	v_fma_f64 v[108:109], v[34:35], s[2:3], v[32:33]
	v_fma_f64 v[112:113], v[34:35], s[0:1], v[32:33]
	v_add_f64 v[32:33], v[42:43], v[46:47]
	v_fma_f64 v[60:61], v[30:31], s[0:1], v[22:23]
	v_fma_f64 v[22:23], v[30:31], s[2:3], v[22:23]
	;; [unrolled: 3-line block ×3, first 2 shown]
	v_add_f64 v[66:67], v[70:71], v[78:79]
	v_add_f64 v[68:69], v[154:155], v[74:75]
	v_fma_f64 v[8:9], v[8:9], -0.5, v[154:155]
	v_add_f64 v[40:41], v[40:41], -v[44:45]
	v_add_f64 v[44:45], v[2:3], v[42:43]
	v_fma_f64 v[2:3], v[32:33], -0.5, v[2:3]
	v_add_f64 v[32:33], v[70:71], -v[78:79]
	;; [unrolled: 3-line block ×3, first 2 shown]
	v_add_f64 v[68:69], v[68:69], v[72:73]
	v_fma_f64 v[72:73], v[40:41], s[2:3], v[8:9]
	v_fma_f64 v[74:75], v[40:41], s[0:1], v[8:9]
	v_add_f64 v[8:9], v[44:45], v[46:47]
	v_fma_f64 v[40:41], v[32:33], s[0:1], v[2:3]
	v_fma_f64 v[2:3], v[32:33], s[2:3], v[2:3]
	ds_write2_b64 v141, v[82:83], v[12:13] offset1:52
	ds_write2_b64 v141, v[84:85], v[14:15] offset0:104 offset1:156
	ds_write2_b64 v101, v[4:5], v[6:7] offset0:80 offset1:132
	;; [unrolled: 1-line block ×5, first 2 shown]
	v_lshl_add_u32 v54, v174, 3, 0
	v_lshl_add_u32 v82, v175, 3, 0
	v_add_u32_e32 v55, 0x1000, v54
	v_add_u32_e32 v83, 0x1000, v82
	ds_write2_b64 v55, v[10:11], v[36:37] offset0:112 offset1:216
	ds_write_b64 v54, v[28:29] offset:6656
	ds_write2_b64 v83, v[38:39], v[60:61] offset0:112 offset1:216
	ds_write_b64 v82, v[22:23] offset:6656
	v_lshl_add_u32 v60, v176, 3, 0
	v_lshl_add_u32 v84, v177, 3, 0
	v_add_u32_e32 v61, 0x1c00, v60
	v_add_u32_e32 v85, 0x1c00, v84
	v_add_f64 v[70:71], v[70:71], v[78:79]
	v_fma_f64 v[78:79], v[42:43], s[2:3], v[66:67]
	v_fma_f64 v[66:67], v[42:43], s[0:1], v[66:67]
	ds_write2_b64 v61, v[30:31], v[34:35] offset0:40 offset1:144
	ds_write_b64 v60, v[0:1] offset:9152
	ds_write2_b64 v85, v[8:9], v[40:41] offset0:40 offset1:144
	ds_write_b64 v84, v[2:3] offset:9152
	s_waitcnt lgkmcnt(0)
	; wave barrier
	s_waitcnt lgkmcnt(0)
	ds_read2_b64 v[0:3], v141 offset1:52
	ds_read2_b64 v[4:7], v98 offset0:112 offset1:164
	ds_read2_b64 v[8:11], v141 offset0:104 offset1:156
	;; [unrolled: 1-line block ×11, first 2 shown]
	s_waitcnt lgkmcnt(0)
	; wave barrier
	s_waitcnt lgkmcnt(0)
	ds_write2_b64 v141, v[48:49], v[92:93] offset1:52
	ds_write2_b64 v141, v[88:89], v[94:95] offset0:104 offset1:156
	ds_write2_b64 v101, v[80:81], v[76:77] offset0:80 offset1:132
	;; [unrolled: 1-line block ×6, first 2 shown]
	ds_write_b64 v54, v[110:111] offset:6656
	ds_write2_b64 v83, v[62:63], v[108:109] offset0:112 offset1:216
	ds_write_b64 v82, v[112:113] offset:6656
	ds_write2_b64 v61, v[68:69], v[72:73] offset0:40 offset1:144
	;; [unrolled: 2-line block ×3, first 2 shown]
	ds_write_b64 v84, v[66:67] offset:9152
	v_add_co_u32_e64 v48, s[0:1], s44, v52
	v_addc_co_u32_e64 v49, s[0:1], 0, v53, s[0:1]
	s_waitcnt lgkmcnt(0)
	; wave barrier
	s_waitcnt lgkmcnt(0)
	global_load_dwordx4 v[54:57], v[48:49], off offset:864
	global_load_dwordx4 v[58:61], v[48:49], off offset:1696
	;; [unrolled: 1-line block ×4, first 2 shown]
	v_add_co_u32_e64 v48, s[0:1], s33, v52
	v_addc_co_u32_e64 v49, s[0:1], 0, v53, s[0:1]
	global_load_dwordx4 v[70:73], v[48:49], off offset:96
	global_load_dwordx4 v[74:77], v[48:49], off offset:928
	ds_read2_b64 v[78:81], v141 offset1:52
	ds_read2_b64 v[82:85], v98 offset0:112 offset1:164
	ds_read2_b64 v[86:89], v141 offset0:104 offset1:156
	;; [unrolled: 1-line block ×11, first 2 shown]
	s_waitcnt lgkmcnt(0)
	; wave barrier
	s_waitcnt vmcnt(5) lgkmcnt(0)
	v_mul_f64 v[136:137], v[82:83], v[56:57]
	s_waitcnt vmcnt(4)
	v_mul_f64 v[144:145], v[84:85], v[60:61]
	s_waitcnt vmcnt(3)
	v_mul_f64 v[148:149], v[90:91], v[64:65]
	v_mul_f64 v[150:151], v[12:13], v[64:65]
	;; [unrolled: 1-line block ×4, first 2 shown]
	s_waitcnt vmcnt(2)
	v_mul_f64 v[152:153], v[92:93], v[68:69]
	v_mul_f64 v[154:155], v[14:15], v[68:69]
	v_fma_f64 v[4:5], v[4:5], v[54:55], v[136:137]
	v_fma_f64 v[6:7], v[6:7], v[58:59], v[144:145]
	;; [unrolled: 1-line block ×3, first 2 shown]
	v_fma_f64 v[90:91], v[90:91], v[62:63], -v[150:151]
	v_mul_f64 v[148:149], v[112:113], v[56:57]
	v_mul_f64 v[56:57], v[28:29], v[56:57]
	;; [unrolled: 1-line block ×4, first 2 shown]
	s_waitcnt vmcnt(1)
	v_mul_f64 v[136:137], v[104:105], v[72:73]
	s_waitcnt vmcnt(0)
	v_mul_f64 v[144:145], v[106:107], v[76:77]
	v_fma_f64 v[82:83], v[82:83], v[54:55], -v[142:143]
	v_fma_f64 v[84:85], v[84:85], v[58:59], -v[146:147]
	v_fma_f64 v[28:29], v[28:29], v[54:55], v[148:149]
	v_fma_f64 v[54:55], v[112:113], v[54:55], -v[56:57]
	v_fma_f64 v[30:31], v[30:31], v[58:59], v[150:151]
	v_fma_f64 v[56:57], v[114:115], v[58:59], -v[60:61]
	v_mul_f64 v[58:59], v[120:121], v[64:65]
	v_mul_f64 v[60:61], v[36:37], v[64:65]
	;; [unrolled: 1-line block ×5, first 2 shown]
	v_fma_f64 v[14:15], v[14:15], v[66:67], v[152:153]
	v_mul_f64 v[142:143], v[20:21], v[72:73]
	v_mul_f64 v[146:147], v[22:23], v[76:77]
	v_fma_f64 v[20:21], v[20:21], v[70:71], v[136:137]
	v_fma_f64 v[22:23], v[22:23], v[74:75], v[144:145]
	v_mul_f64 v[68:69], v[38:39], v[68:69]
	v_mul_f64 v[72:73], v[44:45], v[72:73]
	;; [unrolled: 1-line block ×3, first 2 shown]
	v_fma_f64 v[36:37], v[36:37], v[62:63], v[58:59]
	v_fma_f64 v[38:39], v[38:39], v[66:67], v[64:65]
	;; [unrolled: 1-line block ×4, first 2 shown]
	v_add_f64 v[4:5], v[0:1], -v[4:5]
	v_add_f64 v[6:7], v[2:3], -v[6:7]
	;; [unrolled: 1-line block ×12, first 2 shown]
	v_fma_f64 v[0:1], v[0:1], 2.0, -v[4:5]
	v_fma_f64 v[2:3], v[2:3], 2.0, -v[6:7]
	v_fma_f64 v[92:93], v[92:93], v[66:67], -v[154:155]
	v_fma_f64 v[8:9], v[8:9], 2.0, -v[12:13]
	v_fma_f64 v[10:11], v[10:11], 2.0, -v[14:15]
	v_fma_f64 v[104:105], v[104:105], v[70:71], -v[142:143]
	v_fma_f64 v[106:107], v[106:107], v[74:75], -v[146:147]
	v_fma_f64 v[16:17], v[16:17], 2.0, -v[20:21]
	v_fma_f64 v[18:19], v[18:19], 2.0, -v[22:23]
	;; [unrolled: 1-line block ×4, first 2 shown]
	v_fma_f64 v[58:59], v[120:121], v[62:63], -v[60:61]
	v_fma_f64 v[60:61], v[122:123], v[66:67], -v[68:69]
	;; [unrolled: 1-line block ×4, first 2 shown]
	v_add_f64 v[66:67], v[78:79], -v[82:83]
	v_add_f64 v[68:69], v[80:81], -v[84:85]
	v_fma_f64 v[32:33], v[32:33], 2.0, -v[36:37]
	v_fma_f64 v[34:35], v[34:35], 2.0, -v[38:39]
	;; [unrolled: 1-line block ×4, first 2 shown]
	ds_write2_b64 v141, v[0:1], v[2:3] offset1:52
	ds_write2_b64 v103, v[4:5], v[6:7] offset0:56 offset1:108
	ds_write2_b64 v141, v[8:9], v[10:11] offset0:104 offset1:156
	;; [unrolled: 1-line block ×11, first 2 shown]
	s_waitcnt lgkmcnt(0)
	; wave barrier
	s_waitcnt lgkmcnt(0)
	ds_read2_b64 v[0:3], v141 offset1:52
	ds_read2_b64 v[8:11], v98 offset0:112 offset1:164
	ds_read2_b64 v[4:7], v141 offset0:104 offset1:156
	;; [unrolled: 1-line block ×11, first 2 shown]
	v_add_f64 v[70:71], v[86:87], -v[90:91]
	v_add_f64 v[72:73], v[88:89], -v[92:93]
	;; [unrolled: 1-line block ×6, first 2 shown]
	v_fma_f64 v[74:75], v[78:79], 2.0, -v[66:67]
	v_fma_f64 v[76:77], v[80:81], 2.0, -v[68:69]
	v_add_f64 v[58:59], v[116:117], -v[58:59]
	v_add_f64 v[60:61], v[118:119], -v[60:61]
	;; [unrolled: 1-line block ×4, first 2 shown]
	v_fma_f64 v[78:79], v[86:87], 2.0, -v[70:71]
	v_fma_f64 v[80:81], v[88:89], 2.0, -v[72:73]
	;; [unrolled: 1-line block ×10, first 2 shown]
	s_waitcnt lgkmcnt(0)
	; wave barrier
	s_waitcnt lgkmcnt(0)
	ds_write2_b64 v141, v[74:75], v[76:77] offset1:52
	ds_write2_b64 v103, v[66:67], v[68:69] offset0:56 offset1:108
	ds_write2_b64 v141, v[78:79], v[80:81] offset0:104 offset1:156
	;; [unrolled: 1-line block ×11, first 2 shown]
	s_waitcnt lgkmcnt(0)
	; wave barrier
	s_waitcnt lgkmcnt(0)
	s_and_saveexec_b64 s[0:1], vcc
	s_cbranch_execz .LBB0_21
; %bb.20:
	v_add_co_u32_e32 v110, vcc, 0x340, v52
	s_mov_b64 s[2:3], vcc
	v_add_co_u32_e32 v106, vcc, 0x680, v52
	s_mov_b64 s[0:1], vcc
	v_add_co_u32_e32 v102, vcc, 0x9c0, v52
	s_movk_i32 s14, 0x3000
	s_mov_b64 s[4:5], vcc
	v_add_co_u32_e32 v82, vcc, 0xd00, v52
	v_add_co_u32_e64 v76, s[10:11], s14, v52
	s_mov_b64 s[6:7], vcc
	v_add_co_u32_e32 v78, vcc, 0x1040, v52
	v_addc_co_u32_e64 v77, s[10:11], 0, v53, s[10:11]
	s_mov_b64 s[8:9], vcc
	v_add_co_u32_e32 v74, vcc, 0x4000, v52
	global_load_dwordx4 v[54:57], v[76:77], off offset:3488
	v_addc_co_u32_e32 v75, vcc, 0, v53, vcc
	global_load_dwordx4 v[58:61], v[74:75], off offset:2720
	global_load_dwordx4 v[62:65], v[74:75], off offset:1888
	global_load_dwordx4 v[66:69], v[74:75], off offset:1056
	global_load_dwordx4 v[70:73], v[74:75], off offset:224
	v_addc_co_u32_e64 v52, vcc, 0, v53, s[6:7]
	v_addc_co_u32_e64 v79, vcc, 0, v53, s[8:9]
	global_load_dwordx4 v[74:77], v[76:77], off offset:2656
	v_add_co_u32_e32 v78, vcc, s33, v78
	v_addc_co_u32_e32 v79, vcc, 0, v79, vcc
	global_load_dwordx4 v[78:81], v[78:79], off offset:1760
	v_add_co_u32_e32 v82, vcc, s33, v82
	v_addc_co_u32_e32 v83, vcc, 0, v52, vcc
	global_load_dwordx4 v[82:85], v[82:83], off offset:1760
	v_addc_co_u32_e64 v111, vcc, 0, v53, s[2:3]
	v_addc_co_u32_e64 v107, vcc, 0, v53, s[0:1]
	;; [unrolled: 1-line block ×3, first 2 shown]
	v_add_co_u32_e32 v52, vcc, s33, v102
	v_add_u32_e32 v132, 0x1000, v141
	v_addc_co_u32_e32 v53, vcc, 0, v53, vcc
	v_add_u32_e32 v114, 0x2000, v141
	v_add_u32_e32 v133, 0x800, v141
	;; [unrolled: 1-line block ×3, first 2 shown]
	ds_read2_b64 v[86:89], v132 offset0:8 offset1:60
	ds_read2_b64 v[90:93], v114 offset0:120 offset1:172
	;; [unrolled: 1-line block ×4, first 2 shown]
	global_load_dwordx4 v[102:105], v[52:53], off offset:1760
	global_load_dwordx4 v[118:121], v[48:49], off offset:1760
	v_add_co_u32_e32 v52, vcc, s33, v106
	v_addc_co_u32_e32 v53, vcc, 0, v107, vcc
	global_load_dwordx4 v[106:109], v[52:53], off offset:1760
	v_add_co_u32_e32 v52, vcc, s33, v110
	v_addc_co_u32_e32 v53, vcc, 0, v111, vcc
	global_load_dwordx4 v[110:113], v[52:53], off offset:1760
	ds_read2_b64 v[114:117], v114 offset0:16 offset1:68
	v_or_b32_e32 v124, 0x340, v124
	s_mov_b32 s0, 0x1a41a41b
	s_movk_i32 s6, 0x4000
	s_movk_i32 s1, 0x270
	s_waitcnt vmcnt(11)
	v_mul_f64 v[48:49], v[30:31], v[56:57]
	s_waitcnt lgkmcnt(1)
	v_mul_f64 v[52:53], v[100:101], v[56:57]
	s_waitcnt vmcnt(10)
	v_mul_f64 v[56:57], v[46:47], v[60:61]
	v_mul_f64 v[60:61], v[92:93], v[60:61]
	s_waitcnt vmcnt(9)
	v_mul_f64 v[122:123], v[44:45], v[64:65]
	s_waitcnt vmcnt(8)
	v_mul_f64 v[128:129], v[42:43], v[68:69]
	s_waitcnt lgkmcnt(0)
	v_mul_f64 v[68:69], v[116:117], v[68:69]
	s_waitcnt vmcnt(7)
	v_mul_f64 v[130:131], v[40:41], v[72:73]
	v_mul_f64 v[64:65], v[90:91], v[64:65]
	;; [unrolled: 1-line block ×3, first 2 shown]
	v_fma_f64 v[48:49], v[54:55], v[100:101], -v[48:49]
	v_fma_f64 v[30:31], v[30:31], v[54:55], v[52:53]
	v_fma_f64 v[52:53], v[58:59], v[92:93], -v[56:57]
	v_fma_f64 v[46:47], v[46:47], v[58:59], v[60:61]
	;; [unrolled: 2-line block ×5, first 2 shown]
	v_add_f64 v[42:43], v[88:89], -v[52:53]
	v_add_f64 v[40:41], v[38:39], -v[46:47]
	;; [unrolled: 1-line block ×5, first 2 shown]
	s_waitcnt vmcnt(6)
	v_mul_f64 v[72:73], v[28:29], v[76:77]
	v_add_f64 v[54:55], v[96:97], -v[56:57]
	v_add_f64 v[56:57], v[32:33], -v[62:63]
	v_fma_f64 v[62:63], v[88:89], 2.0, -v[42:43]
	v_fma_f64 v[60:61], v[38:39], 2.0, -v[40:41]
	v_fma_f64 v[38:39], v[86:87], 2.0, -v[46:47]
	ds_read2_b64 v[68:71], v134 offset0:64 offset1:116
	ds_read2_b64 v[86:89], v133 offset0:56 offset1:108
	v_fma_f64 v[64:65], v[34:35], 2.0, -v[52:53]
	v_fma_f64 v[34:35], v[94:95], 2.0, -v[58:59]
	v_mul_f64 v[76:77], v[98:99], v[76:77]
	s_waitcnt vmcnt(5)
	v_mul_f64 v[94:95], v[26:27], v[80:81]
	s_waitcnt lgkmcnt(1)
	v_mul_f64 v[80:81], v[70:71], v[80:81]
	s_waitcnt lgkmcnt(0)
	v_add_f64 v[92:93], v[88:89], -v[48:49]
	v_add_f64 v[90:91], v[22:23], -v[30:31]
	v_fma_f64 v[30:31], v[74:75], v[98:99], -v[72:73]
	s_waitcnt vmcnt(4)
	v_mul_f64 v[48:49], v[24:25], v[84:85]
	v_mul_f64 v[72:73], v[68:69], v[84:85]
	v_fma_f64 v[74:75], v[28:29], v[74:75], v[76:77]
	v_fma_f64 v[76:77], v[78:79], v[70:71], -v[94:95]
	v_fma_f64 v[78:79], v[26:27], v[78:79], v[80:81]
	v_add_u32_e32 v26, 0x400, v141
	ds_read2_b64 v[26:29], v26 offset0:80 offset1:132
	v_add_f64 v[70:71], v[86:87], -v[30:31]
	v_fma_f64 v[30:31], v[82:83], v[68:69], -v[48:49]
	v_fma_f64 v[48:49], v[24:25], v[82:83], v[72:73]
	v_add_f64 v[68:69], v[20:21], -v[74:75]
	s_waitcnt lgkmcnt(0)
	v_add_f64 v[74:75], v[28:29], -v[76:77]
	ds_read2_b64 v[98:101], v132 offset0:112 offset1:164
	v_add_f64 v[72:73], v[18:19], -v[78:79]
	v_fma_f64 v[24:25], v[88:89], 2.0, -v[92:93]
	v_fma_f64 v[78:79], v[86:87], 2.0, -v[70:71]
	v_add_f64 v[82:83], v[26:27], -v[30:31]
	v_add_f64 v[80:81], v[16:17], -v[48:49]
	s_waitcnt vmcnt(3)
	v_mul_f64 v[48:49], v[14:15], v[104:105]
	v_fma_f64 v[76:77], v[20:21], 2.0, -v[68:69]
	v_fma_f64 v[20:21], v[28:29], 2.0, -v[74:75]
	v_add_u32_e32 v28, 0x1400, v141
	ds_read2_b64 v[28:31], v28 offset0:88 offset1:140
	v_fma_f64 v[66:67], v[96:97], 2.0, -v[54:55]
	v_fma_f64 v[86:87], v[26:27], 2.0, -v[82:83]
	;; [unrolled: 1-line block ×3, first 2 shown]
	s_waitcnt vmcnt(1)
	v_mul_f64 v[26:27], v[12:13], v[108:109]
	s_waitcnt lgkmcnt(0)
	v_mul_f64 v[16:17], v[30:31], v[104:105]
	v_mul_f64 v[88:89], v[28:29], v[108:109]
	v_fma_f64 v[30:31], v[102:103], v[30:31], -v[48:49]
	s_waitcnt vmcnt(0)
	v_mul_f64 v[48:49], v[10:11], v[112:113]
	v_mul_f64 v[104:105], v[100:101], v[112:113]
	;; [unrolled: 1-line block ×4, first 2 shown]
	v_fma_f64 v[26:27], v[106:107], v[28:29], -v[26:27]
	v_fma_f64 v[16:17], v[14:15], v[102:103], v[16:17]
	v_fma_f64 v[88:89], v[12:13], v[106:107], v[88:89]
	ds_read2_b64 v[12:15], v141 offset1:52
	v_fma_f64 v[48:49], v[110:111], v[100:101], -v[48:49]
	v_fma_f64 v[102:103], v[10:11], v[110:111], v[104:105]
	v_fma_f64 v[104:105], v[118:119], v[98:99], -v[108:109]
	v_fma_f64 v[106:107], v[8:9], v[118:119], v[112:113]
	ds_read2_b64 v[94:97], v141 offset0:104 offset1:156
	v_add_f64 v[8:9], v[6:7], -v[16:17]
	v_fma_f64 v[18:19], v[18:19], 2.0, -v[72:73]
	v_fma_f64 v[22:23], v[22:23], 2.0, -v[90:91]
	s_waitcnt lgkmcnt(1)
	v_add_f64 v[100:101], v[14:15], -v[48:49]
	v_add_f64 v[98:99], v[2:3], -v[102:103]
	v_add_f64 v[104:105], v[12:13], -v[104:105]
	v_add_f64 v[102:103], v[0:1], -v[106:107]
	s_waitcnt lgkmcnt(0)
	v_add_f64 v[28:29], v[94:95], -v[26:27]
	v_add_f64 v[26:27], v[4:5], -v[88:89]
	v_add_f64 v[10:11], v[96:97], -v[30:31]
	v_add_co_u32_e32 v30, vcc, s12, v126
	v_fma_f64 v[16:17], v[14:15], 2.0, -v[100:101]
	v_fma_f64 v[14:15], v[2:3], 2.0, -v[98:99]
	;; [unrolled: 1-line block ×4, first 2 shown]
	v_mov_b32_e32 v12, s13
	v_fma_f64 v[106:107], v[6:7], 2.0, -v[8:9]
	v_fma_f64 v[6:7], v[94:95], 2.0, -v[28:29]
	;; [unrolled: 1-line block ×3, first 2 shown]
	v_addc_co_u32_e32 v31, vcc, v12, v127, vcc
	v_add_co_u32_e32 v12, vcc, v30, v50
	v_fma_f64 v[108:109], v[96:97], 2.0, -v[10:11]
	v_addc_co_u32_e32 v13, vcc, v31, v51, vcc
	global_store_dwordx4 v[12:13], v[0:3], off
	v_fma_f64 v[32:33], v[32:33], 2.0, -v[56:57]
	v_add_co_u32_e32 v0, vcc, s33, v12
	v_addc_co_u32_e32 v1, vcc, 0, v13, vcc
	global_store_dwordx4 v[0:1], v[102:105], off offset:1792
	global_store_dwordx4 v[12:13], v[14:17], off offset:832
	;; [unrolled: 1-line block ×6, first 2 shown]
	v_add_co_u32_e32 v0, vcc, s14, v12
	v_lshlrev_b64 v[2:3], 4, v[124:125]
	v_addc_co_u32_e32 v1, vcc, 0, v13, vcc
	v_add_co_u32_e32 v2, vcc, v30, v2
	v_addc_co_u32_e32 v3, vcc, v31, v3, vcc
	global_store_dwordx4 v[0:1], v[8:11], off offset:192
	global_store_dwordx4 v[12:13], v[84:87], off offset:3328
	global_store_dwordx4 v[2:3], v[80:83], off
	v_add_co_u32_e32 v2, vcc, s44, v12
	v_addc_co_u32_e32 v3, vcc, 0, v13, vcc
	global_store_dwordx4 v[2:3], v[18:21], off offset:64
	global_store_dwordx4 v[0:1], v[72:75], off offset:1856
	;; [unrolled: 1-line block ×7, first 2 shown]
	v_lshrrev_b32_e32 v0, 4, v140
	v_mul_hi_u32 v2, v0, s0
	v_add_f64 v[44:45], v[36:37], -v[44:45]
	v_add_co_u32_e32 v0, vcc, s6, v12
	v_addc_co_u32_e32 v1, vcc, 0, v13, vcc
	global_store_dwordx4 v[0:1], v[56:59], off offset:256
	v_lshrrev_b32_e32 v0, 2, v2
	v_mad_u32_u24 v124, v0, s1, v140
	v_lshlrev_b64 v[0:1], 4, v[124:125]
	v_lshrrev_b32_e32 v2, 4, v139
	v_add_co_u32_e32 v0, vcc, v30, v0
	v_mul_hi_u32 v2, v2, s0
	v_addc_co_u32_e32 v1, vcc, v31, v1, vcc
	v_fma_f64 v[36:37], v[36:37], 2.0, -v[44:45]
	global_store_dwordx4 v[0:1], v[64:67], off
	v_add_co_u32_e32 v0, vcc, s33, v0
	v_addc_co_u32_e32 v1, vcc, 0, v1, vcc
	global_store_dwordx4 v[0:1], v[52:55], off offset:1792
	v_lshrrev_b32_e32 v0, 2, v2
	v_mad_u32_u24 v124, v0, s1, v139
	v_lshlrev_b64 v[0:1], 4, v[124:125]
	v_lshrrev_b32_e32 v2, 4, v138
	v_add_co_u32_e32 v0, vcc, v30, v0
	v_mul_hi_u32 v2, v2, s0
	v_addc_co_u32_e32 v1, vcc, v31, v1, vcc
	global_store_dwordx4 v[0:1], v[36:39], off
	v_add_co_u32_e32 v0, vcc, s33, v0
	v_addc_co_u32_e32 v1, vcc, 0, v1, vcc
	global_store_dwordx4 v[0:1], v[44:47], off offset:1792
	v_lshrrev_b32_e32 v0, 2, v2
	v_mad_u32_u24 v124, v0, s1, v138
	v_lshlrev_b64 v[0:1], 4, v[124:125]
	v_add_co_u32_e32 v0, vcc, v30, v0
	v_addc_co_u32_e32 v1, vcc, v31, v1, vcc
	global_store_dwordx4 v[0:1], v[60:63], off
	v_add_co_u32_e32 v0, vcc, 0x2000, v0
	v_addc_co_u32_e32 v1, vcc, 0, v1, vcc
	global_store_dwordx4 v[0:1], v[40:43], off offset:1792
.LBB0_21:
	s_endpgm
	.section	.rodata,"a",@progbits
	.p2align	6, 0x0
	.amdhsa_kernel fft_rtc_back_len1248_factors_2_2_13_2_3_2_2_wgs_52_tpt_52_halfLds_dp_ip_CI_unitstride_sbrr_dirReg
		.amdhsa_group_segment_fixed_size 0
		.amdhsa_private_segment_fixed_size 0
		.amdhsa_kernarg_size 88
		.amdhsa_user_sgpr_count 6
		.amdhsa_user_sgpr_private_segment_buffer 1
		.amdhsa_user_sgpr_dispatch_ptr 0
		.amdhsa_user_sgpr_queue_ptr 0
		.amdhsa_user_sgpr_kernarg_segment_ptr 1
		.amdhsa_user_sgpr_dispatch_id 0
		.amdhsa_user_sgpr_flat_scratch_init 0
		.amdhsa_user_sgpr_private_segment_size 0
		.amdhsa_uses_dynamic_stack 0
		.amdhsa_system_sgpr_private_segment_wavefront_offset 0
		.amdhsa_system_sgpr_workgroup_id_x 1
		.amdhsa_system_sgpr_workgroup_id_y 0
		.amdhsa_system_sgpr_workgroup_id_z 0
		.amdhsa_system_sgpr_workgroup_info 0
		.amdhsa_system_vgpr_workitem_id 0
		.amdhsa_next_free_vgpr 254
		.amdhsa_next_free_sgpr 46
		.amdhsa_reserve_vcc 1
		.amdhsa_reserve_flat_scratch 0
		.amdhsa_float_round_mode_32 0
		.amdhsa_float_round_mode_16_64 0
		.amdhsa_float_denorm_mode_32 3
		.amdhsa_float_denorm_mode_16_64 3
		.amdhsa_dx10_clamp 1
		.amdhsa_ieee_mode 1
		.amdhsa_fp16_overflow 0
		.amdhsa_exception_fp_ieee_invalid_op 0
		.amdhsa_exception_fp_denorm_src 0
		.amdhsa_exception_fp_ieee_div_zero 0
		.amdhsa_exception_fp_ieee_overflow 0
		.amdhsa_exception_fp_ieee_underflow 0
		.amdhsa_exception_fp_ieee_inexact 0
		.amdhsa_exception_int_div_zero 0
	.end_amdhsa_kernel
	.text
.Lfunc_end0:
	.size	fft_rtc_back_len1248_factors_2_2_13_2_3_2_2_wgs_52_tpt_52_halfLds_dp_ip_CI_unitstride_sbrr_dirReg, .Lfunc_end0-fft_rtc_back_len1248_factors_2_2_13_2_3_2_2_wgs_52_tpt_52_halfLds_dp_ip_CI_unitstride_sbrr_dirReg
                                        ; -- End function
	.section	.AMDGPU.csdata,"",@progbits
; Kernel info:
; codeLenInByte = 19512
; NumSgprs: 50
; NumVgprs: 254
; ScratchSize: 0
; MemoryBound: 1
; FloatMode: 240
; IeeeMode: 1
; LDSByteSize: 0 bytes/workgroup (compile time only)
; SGPRBlocks: 6
; VGPRBlocks: 63
; NumSGPRsForWavesPerEU: 50
; NumVGPRsForWavesPerEU: 254
; Occupancy: 1
; WaveLimiterHint : 1
; COMPUTE_PGM_RSRC2:SCRATCH_EN: 0
; COMPUTE_PGM_RSRC2:USER_SGPR: 6
; COMPUTE_PGM_RSRC2:TRAP_HANDLER: 0
; COMPUTE_PGM_RSRC2:TGID_X_EN: 1
; COMPUTE_PGM_RSRC2:TGID_Y_EN: 0
; COMPUTE_PGM_RSRC2:TGID_Z_EN: 0
; COMPUTE_PGM_RSRC2:TIDIG_COMP_CNT: 0
	.type	__hip_cuid_63475d774ed0d50d,@object ; @__hip_cuid_63475d774ed0d50d
	.section	.bss,"aw",@nobits
	.globl	__hip_cuid_63475d774ed0d50d
__hip_cuid_63475d774ed0d50d:
	.byte	0                               ; 0x0
	.size	__hip_cuid_63475d774ed0d50d, 1

	.ident	"AMD clang version 19.0.0git (https://github.com/RadeonOpenCompute/llvm-project roc-6.4.0 25133 c7fe45cf4b819c5991fe208aaa96edf142730f1d)"
	.section	".note.GNU-stack","",@progbits
	.addrsig
	.addrsig_sym __hip_cuid_63475d774ed0d50d
	.amdgpu_metadata
---
amdhsa.kernels:
  - .args:
      - .actual_access:  read_only
        .address_space:  global
        .offset:         0
        .size:           8
        .value_kind:     global_buffer
      - .offset:         8
        .size:           8
        .value_kind:     by_value
      - .actual_access:  read_only
        .address_space:  global
        .offset:         16
        .size:           8
        .value_kind:     global_buffer
      - .actual_access:  read_only
        .address_space:  global
        .offset:         24
        .size:           8
        .value_kind:     global_buffer
      - .offset:         32
        .size:           8
        .value_kind:     by_value
      - .actual_access:  read_only
        .address_space:  global
        .offset:         40
        .size:           8
        .value_kind:     global_buffer
      - .actual_access:  read_only
        .address_space:  global
        .offset:         48
        .size:           8
        .value_kind:     global_buffer
      - .offset:         56
        .size:           4
        .value_kind:     by_value
      - .actual_access:  read_only
        .address_space:  global
        .offset:         64
        .size:           8
        .value_kind:     global_buffer
      - .actual_access:  read_only
        .address_space:  global
        .offset:         72
        .size:           8
        .value_kind:     global_buffer
      - .address_space:  global
        .offset:         80
        .size:           8
        .value_kind:     global_buffer
    .group_segment_fixed_size: 0
    .kernarg_segment_align: 8
    .kernarg_segment_size: 88
    .language:       OpenCL C
    .language_version:
      - 2
      - 0
    .max_flat_workgroup_size: 52
    .name:           fft_rtc_back_len1248_factors_2_2_13_2_3_2_2_wgs_52_tpt_52_halfLds_dp_ip_CI_unitstride_sbrr_dirReg
    .private_segment_fixed_size: 0
    .sgpr_count:     50
    .sgpr_spill_count: 0
    .symbol:         fft_rtc_back_len1248_factors_2_2_13_2_3_2_2_wgs_52_tpt_52_halfLds_dp_ip_CI_unitstride_sbrr_dirReg.kd
    .uniform_work_group_size: 1
    .uses_dynamic_stack: false
    .vgpr_count:     254
    .vgpr_spill_count: 0
    .wavefront_size: 64
amdhsa.target:   amdgcn-amd-amdhsa--gfx906
amdhsa.version:
  - 1
  - 2
...

	.end_amdgpu_metadata
